;; amdgpu-corpus repo=ROCm/hipCUB kind=compiled arch=gfx906 opt=O3
	.amdgcn_target "amdgcn-amd-amdhsa--gfx906"
	.amdhsa_code_object_version 6
	.section	.text._Z6kernelI9histogramILN6hipcub23BlockHistogramAlgorithmE0EEiLj256ELj1ELj256ELj100EEvPKT0_PS4_,"axG",@progbits,_Z6kernelI9histogramILN6hipcub23BlockHistogramAlgorithmE0EEiLj256ELj1ELj256ELj100EEvPKT0_PS4_,comdat
	.protected	_Z6kernelI9histogramILN6hipcub23BlockHistogramAlgorithmE0EEiLj256ELj1ELj256ELj100EEvPKT0_PS4_ ; -- Begin function _Z6kernelI9histogramILN6hipcub23BlockHistogramAlgorithmE0EEiLj256ELj1ELj256ELj100EEvPKT0_PS4_
	.globl	_Z6kernelI9histogramILN6hipcub23BlockHistogramAlgorithmE0EEiLj256ELj1ELj256ELj100EEvPKT0_PS4_
	.p2align	8
	.type	_Z6kernelI9histogramILN6hipcub23BlockHistogramAlgorithmE0EEiLj256ELj1ELj256ELj100EEvPKT0_PS4_,@function
_Z6kernelI9histogramILN6hipcub23BlockHistogramAlgorithmE0EEiLj256ELj1ELj256ELj100EEvPKT0_PS4_: ; @_Z6kernelI9histogramILN6hipcub23BlockHistogramAlgorithmE0EEiLj256ELj1ELj256ELj100EEvPKT0_PS4_
; %bb.0:
	s_load_dwordx4 s[20:23], s[4:5], 0x0
	s_lshl_b32 s0, s6, 8
	v_or_b32_e32 v1, s0, v0
	v_mov_b32_e32 v2, 0
	v_lshlrev_b64 v[3:4], 2, v[1:2]
	s_waitcnt lgkmcnt(0)
	v_mov_b32_e32 v5, s21
	v_add_co_u32_e32 v3, vcc, s20, v3
	v_addc_co_u32_e32 v4, vcc, v5, v4, vcc
	global_load_dword v3, v[3:4], off
	s_movk_i32 s0, 0x100
	v_cmp_gt_u32_e32 vcc, s0, v0
	v_mov_b32_e32 v6, v2
	v_mov_b32_e32 v8, v2
	;; [unrolled: 1-line block ×7, first 2 shown]
	v_lshlrev_b32_e32 v0, 2, v0
	s_movk_i32 s20, 0x64
	s_waitcnt vmcnt(0)
	v_and_b32_e32 v4, 1, v3
	v_cmp_eq_u32_e64 s[0:1], 1, v4
	v_add_co_u32_e64 v4, s[2:3], -1, v4
	v_lshlrev_b32_e32 v7, 30, v3
	v_lshlrev_b32_e32 v9, 29, v3
	;; [unrolled: 1-line block ×7, first 2 shown]
	v_addc_co_u32_e64 v5, s[2:3], 0, -1, s[2:3]
	v_cmp_gt_i64_e64 s[2:3], 0, v[6:7]
	v_not_b32_e32 v6, v7
	v_cmp_gt_i64_e64 s[4:5], 0, v[8:9]
	v_not_b32_e32 v7, v9
	;; [unrolled: 2-line block ×4, first 2 shown]
	v_not_b32_e32 v10, v15
	v_not_b32_e32 v11, v17
	;; [unrolled: 1-line block ×3, first 2 shown]
	v_cmp_gt_i64_e64 s[10:11], 0, v[14:15]
	v_cmp_gt_i64_e64 s[12:13], 0, v[16:17]
	;; [unrolled: 1-line block ×3, first 2 shown]
	v_ashrrev_i32_e32 v6, 31, v6
	v_ashrrev_i32_e32 v7, 31, v7
	;; [unrolled: 1-line block ×7, first 2 shown]
	v_lshlrev_b32_e32 v3, 2, v3
	v_mov_b32_e32 v13, v6
	v_mov_b32_e32 v14, v7
	;; [unrolled: 1-line block ×7, first 2 shown]
	s_branch .LBB0_2
.LBB0_1:                                ;   in Loop: Header=BB0_2 Depth=1
	s_or_b64 exec, exec, s[18:19]
	s_add_i32 s20, s20, -1
	s_cmp_eq_u32 s20, 0
	s_waitcnt lgkmcnt(0)
	s_barrier
	s_cbranch_scc1 .LBB0_6
.LBB0_2:                                ; =>This Inner Loop Header: Depth=1
	s_and_saveexec_b64 s[16:17], vcc
; %bb.3:                                ;   in Loop: Header=BB0_2 Depth=1
	ds_write_b32 v0, v2
; %bb.4:                                ;   in Loop: Header=BB0_2 Depth=1
	s_or_b64 exec, exec, s[16:17]
	v_cndmask_b32_e64 v20, 0, 1, s[0:1]
	v_cmp_ne_u32_e64 s[16:17], 0, v20
	v_cndmask_b32_e64 v20, 0, 1, s[2:3]
	v_cmp_ne_u32_e64 s[18:19], 0, v20
	v_xor_b32_e32 v20, s17, v5
	v_and_b32_e32 v20, exec_hi, v20
	v_xor_b32_e32 v21, s19, v13
	v_and_b32_e32 v20, v20, v21
	v_xor_b32_e32 v21, s16, v4
	v_and_b32_e32 v21, exec_lo, v21
	v_xor_b32_e32 v22, s18, v6
	v_and_b32_e32 v21, v21, v22
	v_cndmask_b32_e64 v22, 0, 1, s[4:5]
	v_cmp_ne_u32_e64 s[16:17], 0, v22
	v_xor_b32_e32 v22, s17, v14
	v_and_b32_e32 v20, v20, v22
	v_xor_b32_e32 v22, s16, v7
	v_and_b32_e32 v21, v21, v22
	v_cndmask_b32_e64 v22, 0, 1, s[6:7]
	v_cmp_ne_u32_e64 s[16:17], 0, v22
	v_xor_b32_e32 v22, s17, v15
	v_and_b32_e32 v20, v20, v22
	;; [unrolled: 6-line block ×6, first 2 shown]
	v_xor_b32_e32 v22, s16, v12
	v_and_b32_e32 v21, v21, v22
	v_mbcnt_lo_u32_b32 v22, v21, 0
	v_mbcnt_hi_u32_b32 v22, v20, v22
	v_cmp_eq_u32_e64 s[16:17], 0, v22
	s_waitcnt lgkmcnt(0)
	s_barrier
	s_and_saveexec_b64 s[18:19], s[16:17]
	s_cbranch_execz .LBB0_1
; %bb.5:                                ;   in Loop: Header=BB0_2 Depth=1
	v_bcnt_u32_b32 v21, v21, 0
	v_bcnt_u32_b32 v20, v20, v21
	ds_add_u32 v3, v20
	s_branch .LBB0_1
.LBB0_6:
	s_and_saveexec_b64 s[0:1], vcc
	s_cbranch_execz .LBB0_8
; %bb.7:
	v_mov_b32_e32 v2, 0
	ds_read_b32 v4, v0
	v_lshlrev_b64 v[1:2], 2, v[1:2]
	v_mov_b32_e32 v3, s23
	v_add_co_u32_e32 v0, vcc, s22, v1
	v_addc_co_u32_e32 v1, vcc, v3, v2, vcc
	s_waitcnt lgkmcnt(0)
	global_store_dword v[0:1], v4, off
.LBB0_8:
	s_endpgm
	.section	.rodata,"a",@progbits
	.p2align	6, 0x0
	.amdhsa_kernel _Z6kernelI9histogramILN6hipcub23BlockHistogramAlgorithmE0EEiLj256ELj1ELj256ELj100EEvPKT0_PS4_
		.amdhsa_group_segment_fixed_size 1024
		.amdhsa_private_segment_fixed_size 0
		.amdhsa_kernarg_size 16
		.amdhsa_user_sgpr_count 6
		.amdhsa_user_sgpr_private_segment_buffer 1
		.amdhsa_user_sgpr_dispatch_ptr 0
		.amdhsa_user_sgpr_queue_ptr 0
		.amdhsa_user_sgpr_kernarg_segment_ptr 1
		.amdhsa_user_sgpr_dispatch_id 0
		.amdhsa_user_sgpr_flat_scratch_init 0
		.amdhsa_user_sgpr_private_segment_size 0
		.amdhsa_uses_dynamic_stack 0
		.amdhsa_system_sgpr_private_segment_wavefront_offset 0
		.amdhsa_system_sgpr_workgroup_id_x 1
		.amdhsa_system_sgpr_workgroup_id_y 0
		.amdhsa_system_sgpr_workgroup_id_z 0
		.amdhsa_system_sgpr_workgroup_info 0
		.amdhsa_system_vgpr_workitem_id 0
		.amdhsa_next_free_vgpr 23
		.amdhsa_next_free_sgpr 24
		.amdhsa_reserve_vcc 1
		.amdhsa_reserve_flat_scratch 0
		.amdhsa_float_round_mode_32 0
		.amdhsa_float_round_mode_16_64 0
		.amdhsa_float_denorm_mode_32 3
		.amdhsa_float_denorm_mode_16_64 3
		.amdhsa_dx10_clamp 1
		.amdhsa_ieee_mode 1
		.amdhsa_fp16_overflow 0
		.amdhsa_exception_fp_ieee_invalid_op 0
		.amdhsa_exception_fp_denorm_src 0
		.amdhsa_exception_fp_ieee_div_zero 0
		.amdhsa_exception_fp_ieee_overflow 0
		.amdhsa_exception_fp_ieee_underflow 0
		.amdhsa_exception_fp_ieee_inexact 0
		.amdhsa_exception_int_div_zero 0
	.end_amdhsa_kernel
	.section	.text._Z6kernelI9histogramILN6hipcub23BlockHistogramAlgorithmE0EEiLj256ELj1ELj256ELj100EEvPKT0_PS4_,"axG",@progbits,_Z6kernelI9histogramILN6hipcub23BlockHistogramAlgorithmE0EEiLj256ELj1ELj256ELj100EEvPKT0_PS4_,comdat
.Lfunc_end0:
	.size	_Z6kernelI9histogramILN6hipcub23BlockHistogramAlgorithmE0EEiLj256ELj1ELj256ELj100EEvPKT0_PS4_, .Lfunc_end0-_Z6kernelI9histogramILN6hipcub23BlockHistogramAlgorithmE0EEiLj256ELj1ELj256ELj100EEvPKT0_PS4_
                                        ; -- End function
	.set _Z6kernelI9histogramILN6hipcub23BlockHistogramAlgorithmE0EEiLj256ELj1ELj256ELj100EEvPKT0_PS4_.num_vgpr, 23
	.set _Z6kernelI9histogramILN6hipcub23BlockHistogramAlgorithmE0EEiLj256ELj1ELj256ELj100EEvPKT0_PS4_.num_agpr, 0
	.set _Z6kernelI9histogramILN6hipcub23BlockHistogramAlgorithmE0EEiLj256ELj1ELj256ELj100EEvPKT0_PS4_.numbered_sgpr, 24
	.set _Z6kernelI9histogramILN6hipcub23BlockHistogramAlgorithmE0EEiLj256ELj1ELj256ELj100EEvPKT0_PS4_.num_named_barrier, 0
	.set _Z6kernelI9histogramILN6hipcub23BlockHistogramAlgorithmE0EEiLj256ELj1ELj256ELj100EEvPKT0_PS4_.private_seg_size, 0
	.set _Z6kernelI9histogramILN6hipcub23BlockHistogramAlgorithmE0EEiLj256ELj1ELj256ELj100EEvPKT0_PS4_.uses_vcc, 1
	.set _Z6kernelI9histogramILN6hipcub23BlockHistogramAlgorithmE0EEiLj256ELj1ELj256ELj100EEvPKT0_PS4_.uses_flat_scratch, 0
	.set _Z6kernelI9histogramILN6hipcub23BlockHistogramAlgorithmE0EEiLj256ELj1ELj256ELj100EEvPKT0_PS4_.has_dyn_sized_stack, 0
	.set _Z6kernelI9histogramILN6hipcub23BlockHistogramAlgorithmE0EEiLj256ELj1ELj256ELj100EEvPKT0_PS4_.has_recursion, 0
	.set _Z6kernelI9histogramILN6hipcub23BlockHistogramAlgorithmE0EEiLj256ELj1ELj256ELj100EEvPKT0_PS4_.has_indirect_call, 0
	.section	.AMDGPU.csdata,"",@progbits
; Kernel info:
; codeLenInByte = 724
; TotalNumSgprs: 28
; NumVgprs: 23
; ScratchSize: 0
; MemoryBound: 0
; FloatMode: 240
; IeeeMode: 1
; LDSByteSize: 1024 bytes/workgroup (compile time only)
; SGPRBlocks: 3
; VGPRBlocks: 5
; NumSGPRsForWavesPerEU: 28
; NumVGPRsForWavesPerEU: 23
; Occupancy: 10
; WaveLimiterHint : 0
; COMPUTE_PGM_RSRC2:SCRATCH_EN: 0
; COMPUTE_PGM_RSRC2:USER_SGPR: 6
; COMPUTE_PGM_RSRC2:TRAP_HANDLER: 0
; COMPUTE_PGM_RSRC2:TGID_X_EN: 1
; COMPUTE_PGM_RSRC2:TGID_Y_EN: 0
; COMPUTE_PGM_RSRC2:TGID_Z_EN: 0
; COMPUTE_PGM_RSRC2:TIDIG_COMP_CNT: 0
	.section	.text._Z6kernelI9histogramILN6hipcub23BlockHistogramAlgorithmE0EEiLj256ELj2ELj256ELj100EEvPKT0_PS4_,"axG",@progbits,_Z6kernelI9histogramILN6hipcub23BlockHistogramAlgorithmE0EEiLj256ELj2ELj256ELj100EEvPKT0_PS4_,comdat
	.protected	_Z6kernelI9histogramILN6hipcub23BlockHistogramAlgorithmE0EEiLj256ELj2ELj256ELj100EEvPKT0_PS4_ ; -- Begin function _Z6kernelI9histogramILN6hipcub23BlockHistogramAlgorithmE0EEiLj256ELj2ELj256ELj100EEvPKT0_PS4_
	.globl	_Z6kernelI9histogramILN6hipcub23BlockHistogramAlgorithmE0EEiLj256ELj2ELj256ELj100EEvPKT0_PS4_
	.p2align	8
	.type	_Z6kernelI9histogramILN6hipcub23BlockHistogramAlgorithmE0EEiLj256ELj2ELj256ELj100EEvPKT0_PS4_,@function
_Z6kernelI9histogramILN6hipcub23BlockHistogramAlgorithmE0EEiLj256ELj2ELj256ELj100EEvPKT0_PS4_: ; @_Z6kernelI9histogramILN6hipcub23BlockHistogramAlgorithmE0EEiLj256ELj2ELj256ELj100EEvPKT0_PS4_
; %bb.0:
	s_load_dwordx4 s[36:39], s[4:5], 0x0
	v_lshlrev_b32_e32 v1, 1, v0
	v_lshl_or_b32 v1, s6, 9, v1
	v_mov_b32_e32 v2, 0
	v_lshlrev_b64 v[3:4], 2, v[1:2]
	s_waitcnt lgkmcnt(0)
	v_mov_b32_e32 v1, s37
	v_add_co_u32_e32 v3, vcc, s36, v3
	v_addc_co_u32_e32 v4, vcc, v1, v4, vcc
	global_load_dwordx2 v[3:4], v[3:4], off
	s_movk_i32 s0, 0x100
	v_mov_b32_e32 v5, v2
	v_mov_b32_e32 v9, v2
	;; [unrolled: 1-line block ×8, first 2 shown]
	v_cmp_gt_u32_e32 vcc, s0, v0
	v_mov_b32_e32 v21, v2
	v_mov_b32_e32 v23, v2
	;; [unrolled: 1-line block ×6, first 2 shown]
	s_movk_i32 s7, 0x64
	s_waitcnt vmcnt(0)
	v_lshlrev_b32_e32 v6, 30, v3
	v_lshlrev_b32_e32 v10, 28, v3
	v_lshlrev_b32_e32 v18, 24, v3
	v_and_b32_e32 v33, 1, v3
	v_lshlrev_b32_e32 v8, 29, v3
	v_lshlrev_b32_e32 v12, 27, v3
	;; [unrolled: 1-line block ×10, first 2 shown]
	v_and_b32_e32 v34, 1, v4
	v_lshlrev_b32_e32 v1, 2, v3
	v_lshlrev_b32_e32 v3, 2, v4
	;; [unrolled: 1-line block ×3, first 2 shown]
	v_cmp_gt_i64_e64 s[0:1], 0, v[5:6]
	v_not_b32_e32 v4, v6
	v_cmp_gt_i64_e64 s[4:5], 0, v[9:10]
	v_not_b32_e32 v6, v10
	;; [unrolled: 2-line block ×3, first 2 shown]
	v_add_co_u32_e64 v18, s[36:37], -1, v33
	v_cmp_gt_i64_e64 s[2:3], 0, v[7:8]
	v_not_b32_e32 v5, v8
	v_cmp_gt_i64_e64 s[34:35], 0, v[11:12]
	v_not_b32_e32 v7, v12
	;; [unrolled: 2-line block ×5, first 2 shown]
	v_not_b32_e32 v12, v22
	v_not_b32_e32 v13, v24
	;; [unrolled: 1-line block ×6, first 2 shown]
	v_addc_co_u32_e64 v20, s[36:37], 0, -1, s[36:37]
	v_cmp_gt_i64_e64 s[16:17], 0, v[21:22]
	v_cmp_gt_i64_e64 s[18:19], 0, v[23:24]
	;; [unrolled: 1-line block ×6, first 2 shown]
	v_ashrrev_i32_e32 v4, 31, v4
	v_ashrrev_i32_e32 v5, 31, v5
	;; [unrolled: 1-line block ×14, first 2 shown]
	v_add_co_u32_e64 v28, s[36:37], -1, v34
	v_cmp_eq_u32_e64 s[28:29], 1, v33
	v_cmp_eq_u32_e64 s[30:31], 1, v34
	v_mov_b32_e32 v21, v4
	v_mov_b32_e32 v22, v5
	;; [unrolled: 1-line block ×7, first 2 shown]
	v_addc_co_u32_e64 v29, s[36:37], 0, -1, s[36:37]
	v_mov_b32_e32 v30, v11
	v_mov_b32_e32 v31, v12
	;; [unrolled: 1-line block ×7, first 2 shown]
	v_lshlrev_b32_e32 v19, 2, v0
	s_branch .LBB1_2
.LBB1_1:                                ;   in Loop: Header=BB1_2 Depth=1
	s_or_b64 exec, exec, s[40:41]
	s_add_i32 s7, s7, -1
	s_cmp_eq_u32 s7, 0
	s_waitcnt lgkmcnt(0)
	s_barrier
	s_cbranch_scc1 .LBB1_8
.LBB1_2:                                ; =>This Inner Loop Header: Depth=1
	s_and_saveexec_b64 s[36:37], vcc
; %bb.3:                                ;   in Loop: Header=BB1_2 Depth=1
	ds_write_b32 v19, v2
; %bb.4:                                ;   in Loop: Header=BB1_2 Depth=1
	s_or_b64 exec, exec, s[36:37]
	v_cndmask_b32_e64 v37, 0, 1, s[28:29]
	v_cmp_ne_u32_e64 s[36:37], 0, v37
	v_cndmask_b32_e64 v39, 0, 1, s[0:1]
	v_xor_b32_e32 v37, s37, v20
	v_xor_b32_e32 v38, s36, v18
	v_cmp_ne_u32_e64 s[36:37], 0, v39
	v_and_b32_e32 v37, exec_hi, v37
	v_xor_b32_e32 v39, s37, v21
	v_and_b32_e32 v37, v37, v39
	v_cndmask_b32_e64 v39, 0, 1, s[2:3]
	v_xor_b32_e32 v40, s36, v4
	v_cmp_ne_u32_e64 s[36:37], 0, v39
	v_xor_b32_e32 v39, s37, v22
	v_and_b32_e32 v38, exec_lo, v38
	v_and_b32_e32 v37, v37, v39
	v_cndmask_b32_e64 v39, 0, 1, s[4:5]
	v_and_b32_e32 v38, v38, v40
	v_xor_b32_e32 v40, s36, v5
	v_cmp_ne_u32_e64 s[36:37], 0, v39
	v_xor_b32_e32 v39, s37, v23
	v_and_b32_e32 v37, v37, v39
	v_cndmask_b32_e64 v39, 0, 1, s[34:35]
	v_and_b32_e32 v38, v38, v40
	v_xor_b32_e32 v40, s36, v6
	v_cmp_ne_u32_e64 s[36:37], 0, v39
	v_xor_b32_e32 v39, s37, v24
	;; [unrolled: 6-line block ×4, first 2 shown]
	v_and_b32_e32 v37, v37, v39
	v_cndmask_b32_e64 v39, 0, 1, s[12:13]
	v_and_b32_e32 v38, v38, v40
	v_xor_b32_e32 v40, s36, v9
	v_cmp_ne_u32_e64 s[36:37], 0, v39
	v_and_b32_e32 v38, v38, v40
	v_xor_b32_e32 v40, s36, v10
	v_xor_b32_e32 v39, s37, v27
	v_and_b32_e32 v38, v38, v40
	v_and_b32_e32 v37, v37, v39
	v_mbcnt_lo_u32_b32 v39, v38, 0
	v_mbcnt_hi_u32_b32 v39, v37, v39
	v_cmp_eq_u32_e64 s[36:37], 0, v39
	s_waitcnt lgkmcnt(0)
	s_barrier
	s_and_saveexec_b64 s[40:41], s[36:37]
; %bb.5:                                ;   in Loop: Header=BB1_2 Depth=1
	v_bcnt_u32_b32 v38, v38, 0
	v_bcnt_u32_b32 v37, v37, v38
	ds_add_u32 v1, v37
; %bb.6:                                ;   in Loop: Header=BB1_2 Depth=1
	s_or_b64 exec, exec, s[40:41]
	v_cndmask_b32_e64 v37, 0, 1, s[30:31]
	v_cmp_ne_u32_e64 s[36:37], 0, v37
	v_cndmask_b32_e64 v39, 0, 1, s[14:15]
	v_xor_b32_e32 v37, s37, v29
	v_xor_b32_e32 v38, s36, v28
	v_cmp_ne_u32_e64 s[36:37], 0, v39
	v_and_b32_e32 v37, exec_hi, v37
	v_xor_b32_e32 v39, s37, v30
	v_and_b32_e32 v37, v37, v39
	v_cndmask_b32_e64 v39, 0, 1, s[16:17]
	v_xor_b32_e32 v40, s36, v11
	v_cmp_ne_u32_e64 s[36:37], 0, v39
	v_xor_b32_e32 v39, s37, v31
	v_and_b32_e32 v38, exec_lo, v38
	v_and_b32_e32 v37, v37, v39
	v_cndmask_b32_e64 v39, 0, 1, s[18:19]
	v_and_b32_e32 v38, v38, v40
	v_xor_b32_e32 v40, s36, v12
	v_cmp_ne_u32_e64 s[36:37], 0, v39
	v_xor_b32_e32 v39, s37, v32
	v_and_b32_e32 v37, v37, v39
	v_cndmask_b32_e64 v39, 0, 1, s[20:21]
	v_and_b32_e32 v38, v38, v40
	v_xor_b32_e32 v40, s36, v13
	v_cmp_ne_u32_e64 s[36:37], 0, v39
	v_xor_b32_e32 v39, s37, v33
	;; [unrolled: 6-line block ×4, first 2 shown]
	v_and_b32_e32 v37, v37, v39
	v_cndmask_b32_e64 v39, 0, 1, s[26:27]
	v_and_b32_e32 v38, v38, v40
	v_xor_b32_e32 v40, s36, v16
	v_cmp_ne_u32_e64 s[36:37], 0, v39
	v_and_b32_e32 v38, v38, v40
	v_xor_b32_e32 v40, s36, v17
	v_xor_b32_e32 v39, s37, v36
	v_and_b32_e32 v38, v38, v40
	v_and_b32_e32 v37, v37, v39
	v_mbcnt_lo_u32_b32 v39, v38, 0
	v_mbcnt_hi_u32_b32 v39, v37, v39
	v_cmp_eq_u32_e64 s[36:37], 0, v39
	s_and_saveexec_b64 s[40:41], s[36:37]
	s_cbranch_execz .LBB1_1
; %bb.7:                                ;   in Loop: Header=BB1_2 Depth=1
	v_bcnt_u32_b32 v38, v38, 0
	v_bcnt_u32_b32 v37, v37, v38
	ds_add_u32 v3, v37
	s_branch .LBB1_1
.LBB1_8:
	s_and_saveexec_b64 s[0:1], vcc
	s_cbranch_execz .LBB1_10
; %bb.9:
	v_lshl_or_b32 v0, s6, 8, v0
	v_mov_b32_e32 v1, 0
	ds_read_b32 v3, v19
	v_lshlrev_b64 v[0:1], 2, v[0:1]
	v_mov_b32_e32 v2, s39
	v_add_co_u32_e32 v0, vcc, s38, v0
	v_addc_co_u32_e32 v1, vcc, v2, v1, vcc
	s_waitcnt lgkmcnt(0)
	global_store_dword v[0:1], v3, off
.LBB1_10:
	s_endpgm
	.section	.rodata,"a",@progbits
	.p2align	6, 0x0
	.amdhsa_kernel _Z6kernelI9histogramILN6hipcub23BlockHistogramAlgorithmE0EEiLj256ELj2ELj256ELj100EEvPKT0_PS4_
		.amdhsa_group_segment_fixed_size 1024
		.amdhsa_private_segment_fixed_size 0
		.amdhsa_kernarg_size 16
		.amdhsa_user_sgpr_count 6
		.amdhsa_user_sgpr_private_segment_buffer 1
		.amdhsa_user_sgpr_dispatch_ptr 0
		.amdhsa_user_sgpr_queue_ptr 0
		.amdhsa_user_sgpr_kernarg_segment_ptr 1
		.amdhsa_user_sgpr_dispatch_id 0
		.amdhsa_user_sgpr_flat_scratch_init 0
		.amdhsa_user_sgpr_private_segment_size 0
		.amdhsa_uses_dynamic_stack 0
		.amdhsa_system_sgpr_private_segment_wavefront_offset 0
		.amdhsa_system_sgpr_workgroup_id_x 1
		.amdhsa_system_sgpr_workgroup_id_y 0
		.amdhsa_system_sgpr_workgroup_id_z 0
		.amdhsa_system_sgpr_workgroup_info 0
		.amdhsa_system_vgpr_workitem_id 0
		.amdhsa_next_free_vgpr 41
		.amdhsa_next_free_sgpr 42
		.amdhsa_reserve_vcc 1
		.amdhsa_reserve_flat_scratch 0
		.amdhsa_float_round_mode_32 0
		.amdhsa_float_round_mode_16_64 0
		.amdhsa_float_denorm_mode_32 3
		.amdhsa_float_denorm_mode_16_64 3
		.amdhsa_dx10_clamp 1
		.amdhsa_ieee_mode 1
		.amdhsa_fp16_overflow 0
		.amdhsa_exception_fp_ieee_invalid_op 0
		.amdhsa_exception_fp_denorm_src 0
		.amdhsa_exception_fp_ieee_div_zero 0
		.amdhsa_exception_fp_ieee_overflow 0
		.amdhsa_exception_fp_ieee_underflow 0
		.amdhsa_exception_fp_ieee_inexact 0
		.amdhsa_exception_int_div_zero 0
	.end_amdhsa_kernel
	.section	.text._Z6kernelI9histogramILN6hipcub23BlockHistogramAlgorithmE0EEiLj256ELj2ELj256ELj100EEvPKT0_PS4_,"axG",@progbits,_Z6kernelI9histogramILN6hipcub23BlockHistogramAlgorithmE0EEiLj256ELj2ELj256ELj100EEvPKT0_PS4_,comdat
.Lfunc_end1:
	.size	_Z6kernelI9histogramILN6hipcub23BlockHistogramAlgorithmE0EEiLj256ELj2ELj256ELj100EEvPKT0_PS4_, .Lfunc_end1-_Z6kernelI9histogramILN6hipcub23BlockHistogramAlgorithmE0EEiLj256ELj2ELj256ELj100EEvPKT0_PS4_
                                        ; -- End function
	.set _Z6kernelI9histogramILN6hipcub23BlockHistogramAlgorithmE0EEiLj256ELj2ELj256ELj100EEvPKT0_PS4_.num_vgpr, 41
	.set _Z6kernelI9histogramILN6hipcub23BlockHistogramAlgorithmE0EEiLj256ELj2ELj256ELj100EEvPKT0_PS4_.num_agpr, 0
	.set _Z6kernelI9histogramILN6hipcub23BlockHistogramAlgorithmE0EEiLj256ELj2ELj256ELj100EEvPKT0_PS4_.numbered_sgpr, 42
	.set _Z6kernelI9histogramILN6hipcub23BlockHistogramAlgorithmE0EEiLj256ELj2ELj256ELj100EEvPKT0_PS4_.num_named_barrier, 0
	.set _Z6kernelI9histogramILN6hipcub23BlockHistogramAlgorithmE0EEiLj256ELj2ELj256ELj100EEvPKT0_PS4_.private_seg_size, 0
	.set _Z6kernelI9histogramILN6hipcub23BlockHistogramAlgorithmE0EEiLj256ELj2ELj256ELj100EEvPKT0_PS4_.uses_vcc, 1
	.set _Z6kernelI9histogramILN6hipcub23BlockHistogramAlgorithmE0EEiLj256ELj2ELj256ELj100EEvPKT0_PS4_.uses_flat_scratch, 0
	.set _Z6kernelI9histogramILN6hipcub23BlockHistogramAlgorithmE0EEiLj256ELj2ELj256ELj100EEvPKT0_PS4_.has_dyn_sized_stack, 0
	.set _Z6kernelI9histogramILN6hipcub23BlockHistogramAlgorithmE0EEiLj256ELj2ELj256ELj100EEvPKT0_PS4_.has_recursion, 0
	.set _Z6kernelI9histogramILN6hipcub23BlockHistogramAlgorithmE0EEiLj256ELj2ELj256ELj100EEvPKT0_PS4_.has_indirect_call, 0
	.section	.AMDGPU.csdata,"",@progbits
; Kernel info:
; codeLenInByte = 1276
; TotalNumSgprs: 46
; NumVgprs: 41
; ScratchSize: 0
; MemoryBound: 0
; FloatMode: 240
; IeeeMode: 1
; LDSByteSize: 1024 bytes/workgroup (compile time only)
; SGPRBlocks: 5
; VGPRBlocks: 10
; NumSGPRsForWavesPerEU: 46
; NumVGPRsForWavesPerEU: 41
; Occupancy: 5
; WaveLimiterHint : 0
; COMPUTE_PGM_RSRC2:SCRATCH_EN: 0
; COMPUTE_PGM_RSRC2:USER_SGPR: 6
; COMPUTE_PGM_RSRC2:TRAP_HANDLER: 0
; COMPUTE_PGM_RSRC2:TGID_X_EN: 1
; COMPUTE_PGM_RSRC2:TGID_Y_EN: 0
; COMPUTE_PGM_RSRC2:TGID_Z_EN: 0
; COMPUTE_PGM_RSRC2:TIDIG_COMP_CNT: 0
	.section	.text._Z6kernelI9histogramILN6hipcub23BlockHistogramAlgorithmE0EEiLj256ELj3ELj256ELj100EEvPKT0_PS4_,"axG",@progbits,_Z6kernelI9histogramILN6hipcub23BlockHistogramAlgorithmE0EEiLj256ELj3ELj256ELj100EEvPKT0_PS4_,comdat
	.protected	_Z6kernelI9histogramILN6hipcub23BlockHistogramAlgorithmE0EEiLj256ELj3ELj256ELj100EEvPKT0_PS4_ ; -- Begin function _Z6kernelI9histogramILN6hipcub23BlockHistogramAlgorithmE0EEiLj256ELj3ELj256ELj100EEvPKT0_PS4_
	.globl	_Z6kernelI9histogramILN6hipcub23BlockHistogramAlgorithmE0EEiLj256ELj3ELj256ELj100EEvPKT0_PS4_
	.p2align	8
	.type	_Z6kernelI9histogramILN6hipcub23BlockHistogramAlgorithmE0EEiLj256ELj3ELj256ELj100EEvPKT0_PS4_,@function
_Z6kernelI9histogramILN6hipcub23BlockHistogramAlgorithmE0EEiLj256ELj3ELj256ELj100EEvPKT0_PS4_: ; @_Z6kernelI9histogramILN6hipcub23BlockHistogramAlgorithmE0EEiLj256ELj3ELj256ELj100EEvPKT0_PS4_
; %bb.0:
	s_load_dwordx4 s[52:55], s[4:5], 0x0
	s_lshl_b32 s0, s6, 8
	v_or_b32_e32 v1, s0, v0
	v_lshl_add_u32 v2, v1, 1, v1
	v_mov_b32_e32 v3, 0
	v_lshlrev_b64 v[4:5], 2, v[2:3]
	s_waitcnt lgkmcnt(0)
	v_mov_b32_e32 v6, s53
	v_add_co_u32_e32 v4, vcc, s52, v4
	v_addc_co_u32_e32 v5, vcc, v6, v5, vcc
	global_load_dword v34, v[4:5], off
	v_mov_b32_e32 v5, v3
	v_add_u32_e32 v4, 1, v2
	v_lshlrev_b64 v[4:5], 2, v[4:5]
	v_add_u32_e32 v2, 2, v2
	v_add_co_u32_e32 v4, vcc, s52, v4
	v_addc_co_u32_e32 v5, vcc, v6, v5, vcc
	global_load_dword v35, v[4:5], off
	v_lshlrev_b64 v[4:5], 2, v[2:3]
	v_mov_b32_e32 v2, s53
	v_add_co_u32_e32 v4, vcc, s52, v4
	v_addc_co_u32_e32 v5, vcc, v2, v5, vcc
	global_load_dword v36, v[4:5], off
	v_mov_b32_e32 v4, v3
	v_mov_b32_e32 v20, v3
	;; [unrolled: 1-line block ×15, first 2 shown]
	s_movk_i32 s33, 0x100
	v_cmp_gt_u32_e64 s[42:43], s33, v0
	v_lshlrev_b32_e32 v0, 2, v0
	s_movk_i32 s33, 0x64
	s_waitcnt vmcnt(2)
	v_lshlrev_b32_e32 v5, 30, v34
	v_cmp_gt_i64_e32 vcc, 0, v[4:5]
	v_not_b32_e32 v2, v5
	v_lshlrev_b32_e32 v7, 29, v34
	v_lshlrev_b32_e32 v9, 28, v34
	v_lshlrev_b32_e32 v13, 26, v34
	v_lshlrev_b32_e32 v17, 24, v34
	v_cmp_gt_i64_e64 s[0:1], 0, v[6:7]
	v_not_b32_e32 v6, v7
	s_waitcnt vmcnt(1)
	v_lshlrev_b32_e32 v21, 29, v35
	v_lshlrev_b32_e32 v27, 26, v35
	v_cmp_gt_i64_e64 s[14:15], 0, v[20:21]
	v_lshlrev_b32_e32 v23, 28, v35
	v_cmp_gt_i64_e64 s[2:3], 0, v[8:9]
	v_not_b32_e32 v7, v9
	v_cmp_gt_i64_e64 s[6:7], 0, v[12:13]
	s_waitcnt vmcnt(0)
	v_lshlrev_b32_e32 v5, 29, v36
	v_cmp_gt_i64_e64 s[28:29], 0, v[4:5]
	v_not_b32_e32 v20, v5
	v_lshlrev_b32_e32 v5, 28, v36
	v_not_b32_e32 v9, v13
	v_cmp_gt_i64_e64 s[10:11], 0, v[16:17]
	v_not_b32_e32 v13, v21
	v_cmp_gt_i64_e64 s[20:21], 0, v[26:27]
	;; [unrolled: 2-line block ×3, first 2 shown]
	v_not_b32_e32 v21, v5
	v_lshlrev_b32_e32 v5, 27, v36
	v_and_b32_e32 v27, 1, v34
	v_lshlrev_b32_e32 v15, 25, v34
	v_lshlrev_b32_e32 v29, 25, v35
	v_cmp_gt_i64_e64 s[16:17], 0, v[22:23]
	v_cmp_gt_i64_e64 s[34:35], 0, v[4:5]
	v_not_b32_e32 v22, v5
	v_lshlrev_b32_e32 v5, 26, v36
	v_cmp_eq_u32_e64 s[44:45], 1, v27
	v_add_co_u32_e64 v27, s[50:51], -1, v27
	v_lshlrev_b32_e32 v25, 27, v35
	v_cmp_gt_i64_e64 s[8:9], 0, v[14:15]
	v_not_b32_e32 v14, v23
	v_cmp_gt_i64_e64 s[22:23], 0, v[28:29]
	v_cmp_gt_i64_e64 s[36:37], 0, v[4:5]
	v_not_b32_e32 v23, v5
	v_lshlrev_b32_e32 v5, 25, v36
	v_and_b32_e32 v37, 1, v35
	v_addc_co_u32_e64 v28, s[50:51], 0, -1, s[50:51]
	v_lshlrev_b32_e32 v11, 27, v34
	v_lshlrev_b32_e32 v19, 30, v35
	;; [unrolled: 1-line block ×4, first 2 shown]
	v_cmp_gt_i64_e64 s[18:19], 0, v[24:25]
	v_cmp_gt_i64_e64 s[38:39], 0, v[4:5]
	v_not_b32_e32 v24, v5
	v_lshlrev_b32_e32 v5, 24, v36
	v_and_b32_e32 v45, 1, v36
	v_lshlrev_b32_e32 v26, 2, v36
	v_add_co_u32_e64 v36, s[50:51], -1, v37
	v_cmp_gt_i64_e64 s[4:5], 0, v[10:11]
	v_not_b32_e32 v8, v11
	v_not_b32_e32 v10, v15
	;; [unrolled: 1-line block ×3, first 2 shown]
	v_cmp_gt_i64_e64 s[12:13], 0, v[18:19]
	v_not_b32_e32 v12, v19
	v_not_b32_e32 v15, v25
	;; [unrolled: 1-line block ×6, first 2 shown]
	v_cmp_eq_u32_e64 s[46:47], 1, v37
	v_addc_co_u32_e64 v37, s[50:51], 0, -1, s[50:51]
	v_cmp_gt_i64_e64 s[24:25], 0, v[30:31]
	v_cmp_gt_i64_e64 s[26:27], 0, v[32:33]
	;; [unrolled: 1-line block ×3, first 2 shown]
	v_ashrrev_i32_e32 v2, 31, v2
	v_ashrrev_i32_e32 v4, 31, v6
	v_ashrrev_i32_e32 v5, 31, v7
	v_ashrrev_i32_e32 v6, 31, v8
	v_ashrrev_i32_e32 v7, 31, v9
	v_ashrrev_i32_e32 v8, 31, v10
	v_ashrrev_i32_e32 v9, 31, v11
	v_ashrrev_i32_e32 v10, 31, v12
	v_ashrrev_i32_e32 v11, 31, v13
	v_ashrrev_i32_e32 v12, 31, v14
	v_ashrrev_i32_e32 v13, 31, v15
	v_ashrrev_i32_e32 v14, 31, v16
	v_ashrrev_i32_e32 v15, 31, v17
	v_ashrrev_i32_e32 v16, 31, v18
	v_cmp_eq_u32_e64 s[48:49], 1, v45
	v_ashrrev_i32_e32 v17, 31, v19
	v_ashrrev_i32_e32 v18, 31, v20
	;; [unrolled: 1-line block ×7, first 2 shown]
	v_add_co_u32_e64 v45, s[50:51], -1, v45
	v_lshlrev_b32_e32 v24, 2, v34
	v_lshlrev_b32_e32 v25, 2, v35
	v_mov_b32_e32 v29, v2
	v_mov_b32_e32 v30, v4
	v_mov_b32_e32 v31, v5
	v_mov_b32_e32 v32, v6
	v_mov_b32_e32 v33, v7
	v_mov_b32_e32 v34, v8
	v_mov_b32_e32 v35, v9
	v_mov_b32_e32 v38, v10
	v_mov_b32_e32 v39, v11
	v_mov_b32_e32 v40, v12
	v_mov_b32_e32 v41, v13
	v_mov_b32_e32 v42, v14
	v_mov_b32_e32 v43, v15
	v_mov_b32_e32 v44, v16
	v_addc_co_u32_e64 v46, s[50:51], 0, -1, s[50:51]
	v_mov_b32_e32 v47, v17
	v_mov_b32_e32 v48, v18
	;; [unrolled: 1-line block ×7, first 2 shown]
	s_branch .LBB2_2
.LBB2_1:                                ;   in Loop: Header=BB2_2 Depth=1
	s_or_b64 exec, exec, s[52:53]
	s_add_i32 s33, s33, -1
	s_cmp_eq_u32 s33, 0
	s_waitcnt lgkmcnt(0)
	s_barrier
	s_cbranch_scc1 .LBB2_10
.LBB2_2:                                ; =>This Inner Loop Header: Depth=1
	s_and_saveexec_b64 s[50:51], s[42:43]
; %bb.3:                                ;   in Loop: Header=BB2_2 Depth=1
	ds_write_b32 v0, v3
; %bb.4:                                ;   in Loop: Header=BB2_2 Depth=1
	s_or_b64 exec, exec, s[50:51]
	v_cndmask_b32_e64 v54, 0, 1, s[44:45]
	v_cmp_ne_u32_e64 s[50:51], 0, v54
	v_cndmask_b32_e64 v56, 0, 1, vcc
	v_xor_b32_e32 v54, s51, v28
	v_xor_b32_e32 v55, s50, v27
	v_cmp_ne_u32_e64 s[50:51], 0, v56
	v_and_b32_e32 v54, exec_hi, v54
	v_xor_b32_e32 v56, s51, v29
	v_and_b32_e32 v54, v54, v56
	v_cndmask_b32_e64 v56, 0, 1, s[0:1]
	v_xor_b32_e32 v57, s50, v2
	v_cmp_ne_u32_e64 s[50:51], 0, v56
	v_xor_b32_e32 v56, s51, v30
	v_and_b32_e32 v55, exec_lo, v55
	v_and_b32_e32 v54, v54, v56
	v_cndmask_b32_e64 v56, 0, 1, s[2:3]
	v_and_b32_e32 v55, v55, v57
	v_xor_b32_e32 v57, s50, v4
	v_cmp_ne_u32_e64 s[50:51], 0, v56
	v_xor_b32_e32 v56, s51, v31
	v_and_b32_e32 v54, v54, v56
	v_cndmask_b32_e64 v56, 0, 1, s[4:5]
	v_and_b32_e32 v55, v55, v57
	v_xor_b32_e32 v57, s50, v5
	v_cmp_ne_u32_e64 s[50:51], 0, v56
	v_xor_b32_e32 v56, s51, v32
	;; [unrolled: 6-line block ×4, first 2 shown]
	v_and_b32_e32 v54, v54, v56
	v_cndmask_b32_e64 v56, 0, 1, s[10:11]
	v_and_b32_e32 v55, v55, v57
	v_xor_b32_e32 v57, s50, v8
	v_cmp_ne_u32_e64 s[50:51], 0, v56
	v_and_b32_e32 v55, v55, v57
	v_xor_b32_e32 v57, s50, v9
	v_xor_b32_e32 v56, s51, v35
	v_and_b32_e32 v55, v55, v57
	v_and_b32_e32 v54, v54, v56
	v_mbcnt_lo_u32_b32 v56, v55, 0
	v_mbcnt_hi_u32_b32 v56, v54, v56
	v_cmp_eq_u32_e64 s[50:51], 0, v56
	s_waitcnt lgkmcnt(0)
	s_barrier
	s_and_saveexec_b64 s[52:53], s[50:51]
; %bb.5:                                ;   in Loop: Header=BB2_2 Depth=1
	v_bcnt_u32_b32 v55, v55, 0
	v_bcnt_u32_b32 v54, v54, v55
	ds_add_u32 v24, v54
; %bb.6:                                ;   in Loop: Header=BB2_2 Depth=1
	s_or_b64 exec, exec, s[52:53]
	v_cndmask_b32_e64 v54, 0, 1, s[46:47]
	v_cmp_ne_u32_e64 s[50:51], 0, v54
	v_cndmask_b32_e64 v56, 0, 1, s[12:13]
	v_xor_b32_e32 v54, s51, v37
	v_xor_b32_e32 v55, s50, v36
	v_cmp_ne_u32_e64 s[50:51], 0, v56
	v_and_b32_e32 v54, exec_hi, v54
	v_xor_b32_e32 v56, s51, v38
	v_and_b32_e32 v54, v54, v56
	v_cndmask_b32_e64 v56, 0, 1, s[14:15]
	v_xor_b32_e32 v57, s50, v10
	v_cmp_ne_u32_e64 s[50:51], 0, v56
	v_xor_b32_e32 v56, s51, v39
	v_and_b32_e32 v55, exec_lo, v55
	v_and_b32_e32 v54, v54, v56
	v_cndmask_b32_e64 v56, 0, 1, s[16:17]
	v_and_b32_e32 v55, v55, v57
	v_xor_b32_e32 v57, s50, v11
	v_cmp_ne_u32_e64 s[50:51], 0, v56
	v_xor_b32_e32 v56, s51, v40
	v_and_b32_e32 v54, v54, v56
	v_cndmask_b32_e64 v56, 0, 1, s[18:19]
	v_and_b32_e32 v55, v55, v57
	v_xor_b32_e32 v57, s50, v12
	v_cmp_ne_u32_e64 s[50:51], 0, v56
	v_xor_b32_e32 v56, s51, v41
	;; [unrolled: 6-line block ×4, first 2 shown]
	v_and_b32_e32 v54, v54, v56
	v_cndmask_b32_e64 v56, 0, 1, s[24:25]
	v_and_b32_e32 v55, v55, v57
	v_xor_b32_e32 v57, s50, v15
	v_cmp_ne_u32_e64 s[50:51], 0, v56
	v_and_b32_e32 v55, v55, v57
	v_xor_b32_e32 v57, s50, v16
	v_xor_b32_e32 v56, s51, v44
	v_and_b32_e32 v55, v55, v57
	v_and_b32_e32 v54, v54, v56
	v_mbcnt_lo_u32_b32 v56, v55, 0
	v_mbcnt_hi_u32_b32 v56, v54, v56
	v_cmp_eq_u32_e64 s[50:51], 0, v56
	s_and_saveexec_b64 s[52:53], s[50:51]
; %bb.7:                                ;   in Loop: Header=BB2_2 Depth=1
	v_bcnt_u32_b32 v55, v55, 0
	v_bcnt_u32_b32 v54, v54, v55
	ds_add_u32 v25, v54
; %bb.8:                                ;   in Loop: Header=BB2_2 Depth=1
	s_or_b64 exec, exec, s[52:53]
	v_cndmask_b32_e64 v54, 0, 1, s[48:49]
	v_cmp_ne_u32_e64 s[50:51], 0, v54
	v_cndmask_b32_e64 v56, 0, 1, s[26:27]
	v_xor_b32_e32 v54, s51, v46
	v_xor_b32_e32 v55, s50, v45
	v_cmp_ne_u32_e64 s[50:51], 0, v56
	v_and_b32_e32 v54, exec_hi, v54
	v_xor_b32_e32 v56, s51, v47
	v_and_b32_e32 v54, v54, v56
	v_cndmask_b32_e64 v56, 0, 1, s[28:29]
	v_xor_b32_e32 v57, s50, v17
	v_cmp_ne_u32_e64 s[50:51], 0, v56
	v_xor_b32_e32 v56, s51, v48
	v_and_b32_e32 v55, exec_lo, v55
	v_and_b32_e32 v54, v54, v56
	v_cndmask_b32_e64 v56, 0, 1, s[30:31]
	v_and_b32_e32 v55, v55, v57
	v_xor_b32_e32 v57, s50, v18
	v_cmp_ne_u32_e64 s[50:51], 0, v56
	v_xor_b32_e32 v56, s51, v49
	v_and_b32_e32 v54, v54, v56
	v_cndmask_b32_e64 v56, 0, 1, s[34:35]
	v_and_b32_e32 v55, v55, v57
	v_xor_b32_e32 v57, s50, v19
	v_cmp_ne_u32_e64 s[50:51], 0, v56
	v_xor_b32_e32 v56, s51, v50
	;; [unrolled: 6-line block ×4, first 2 shown]
	v_and_b32_e32 v54, v54, v56
	v_cndmask_b32_e64 v56, 0, 1, s[40:41]
	v_and_b32_e32 v55, v55, v57
	v_xor_b32_e32 v57, s50, v22
	v_cmp_ne_u32_e64 s[50:51], 0, v56
	v_and_b32_e32 v55, v55, v57
	v_xor_b32_e32 v57, s50, v23
	v_xor_b32_e32 v56, s51, v53
	v_and_b32_e32 v55, v55, v57
	v_and_b32_e32 v54, v54, v56
	v_mbcnt_lo_u32_b32 v56, v55, 0
	v_mbcnt_hi_u32_b32 v56, v54, v56
	v_cmp_eq_u32_e64 s[50:51], 0, v56
	s_and_saveexec_b64 s[52:53], s[50:51]
	s_cbranch_execz .LBB2_1
; %bb.9:                                ;   in Loop: Header=BB2_2 Depth=1
	v_bcnt_u32_b32 v55, v55, 0
	v_bcnt_u32_b32 v54, v54, v55
	ds_add_u32 v26, v54
	s_branch .LBB2_1
.LBB2_10:
	s_and_saveexec_b64 s[0:1], s[42:43]
	s_cbranch_execz .LBB2_12
; %bb.11:
	v_mov_b32_e32 v2, 0
	ds_read_b32 v4, v0
	v_lshlrev_b64 v[1:2], 2, v[1:2]
	v_mov_b32_e32 v3, s55
	v_add_co_u32_e32 v0, vcc, s54, v1
	v_addc_co_u32_e32 v1, vcc, v3, v2, vcc
	s_waitcnt lgkmcnt(0)
	global_store_dword v[0:1], v4, off
.LBB2_12:
	s_endpgm
	.section	.rodata,"a",@progbits
	.p2align	6, 0x0
	.amdhsa_kernel _Z6kernelI9histogramILN6hipcub23BlockHistogramAlgorithmE0EEiLj256ELj3ELj256ELj100EEvPKT0_PS4_
		.amdhsa_group_segment_fixed_size 1024
		.amdhsa_private_segment_fixed_size 0
		.amdhsa_kernarg_size 16
		.amdhsa_user_sgpr_count 6
		.amdhsa_user_sgpr_private_segment_buffer 1
		.amdhsa_user_sgpr_dispatch_ptr 0
		.amdhsa_user_sgpr_queue_ptr 0
		.amdhsa_user_sgpr_kernarg_segment_ptr 1
		.amdhsa_user_sgpr_dispatch_id 0
		.amdhsa_user_sgpr_flat_scratch_init 0
		.amdhsa_user_sgpr_private_segment_size 0
		.amdhsa_uses_dynamic_stack 0
		.amdhsa_system_sgpr_private_segment_wavefront_offset 0
		.amdhsa_system_sgpr_workgroup_id_x 1
		.amdhsa_system_sgpr_workgroup_id_y 0
		.amdhsa_system_sgpr_workgroup_id_z 0
		.amdhsa_system_sgpr_workgroup_info 0
		.amdhsa_system_vgpr_workitem_id 0
		.amdhsa_next_free_vgpr 58
		.amdhsa_next_free_sgpr 56
		.amdhsa_reserve_vcc 1
		.amdhsa_reserve_flat_scratch 0
		.amdhsa_float_round_mode_32 0
		.amdhsa_float_round_mode_16_64 0
		.amdhsa_float_denorm_mode_32 3
		.amdhsa_float_denorm_mode_16_64 3
		.amdhsa_dx10_clamp 1
		.amdhsa_ieee_mode 1
		.amdhsa_fp16_overflow 0
		.amdhsa_exception_fp_ieee_invalid_op 0
		.amdhsa_exception_fp_denorm_src 0
		.amdhsa_exception_fp_ieee_div_zero 0
		.amdhsa_exception_fp_ieee_overflow 0
		.amdhsa_exception_fp_ieee_underflow 0
		.amdhsa_exception_fp_ieee_inexact 0
		.amdhsa_exception_int_div_zero 0
	.end_amdhsa_kernel
	.section	.text._Z6kernelI9histogramILN6hipcub23BlockHistogramAlgorithmE0EEiLj256ELj3ELj256ELj100EEvPKT0_PS4_,"axG",@progbits,_Z6kernelI9histogramILN6hipcub23BlockHistogramAlgorithmE0EEiLj256ELj3ELj256ELj100EEvPKT0_PS4_,comdat
.Lfunc_end2:
	.size	_Z6kernelI9histogramILN6hipcub23BlockHistogramAlgorithmE0EEiLj256ELj3ELj256ELj100EEvPKT0_PS4_, .Lfunc_end2-_Z6kernelI9histogramILN6hipcub23BlockHistogramAlgorithmE0EEiLj256ELj3ELj256ELj100EEvPKT0_PS4_
                                        ; -- End function
	.set _Z6kernelI9histogramILN6hipcub23BlockHistogramAlgorithmE0EEiLj256ELj3ELj256ELj100EEvPKT0_PS4_.num_vgpr, 58
	.set _Z6kernelI9histogramILN6hipcub23BlockHistogramAlgorithmE0EEiLj256ELj3ELj256ELj100EEvPKT0_PS4_.num_agpr, 0
	.set _Z6kernelI9histogramILN6hipcub23BlockHistogramAlgorithmE0EEiLj256ELj3ELj256ELj100EEvPKT0_PS4_.numbered_sgpr, 56
	.set _Z6kernelI9histogramILN6hipcub23BlockHistogramAlgorithmE0EEiLj256ELj3ELj256ELj100EEvPKT0_PS4_.num_named_barrier, 0
	.set _Z6kernelI9histogramILN6hipcub23BlockHistogramAlgorithmE0EEiLj256ELj3ELj256ELj100EEvPKT0_PS4_.private_seg_size, 0
	.set _Z6kernelI9histogramILN6hipcub23BlockHistogramAlgorithmE0EEiLj256ELj3ELj256ELj100EEvPKT0_PS4_.uses_vcc, 1
	.set _Z6kernelI9histogramILN6hipcub23BlockHistogramAlgorithmE0EEiLj256ELj3ELj256ELj100EEvPKT0_PS4_.uses_flat_scratch, 0
	.set _Z6kernelI9histogramILN6hipcub23BlockHistogramAlgorithmE0EEiLj256ELj3ELj256ELj100EEvPKT0_PS4_.has_dyn_sized_stack, 0
	.set _Z6kernelI9histogramILN6hipcub23BlockHistogramAlgorithmE0EEiLj256ELj3ELj256ELj100EEvPKT0_PS4_.has_recursion, 0
	.set _Z6kernelI9histogramILN6hipcub23BlockHistogramAlgorithmE0EEiLj256ELj3ELj256ELj100EEvPKT0_PS4_.has_indirect_call, 0
	.section	.AMDGPU.csdata,"",@progbits
; Kernel info:
; codeLenInByte = 1860
; TotalNumSgprs: 60
; NumVgprs: 58
; ScratchSize: 0
; MemoryBound: 0
; FloatMode: 240
; IeeeMode: 1
; LDSByteSize: 1024 bytes/workgroup (compile time only)
; SGPRBlocks: 7
; VGPRBlocks: 14
; NumSGPRsForWavesPerEU: 60
; NumVGPRsForWavesPerEU: 58
; Occupancy: 4
; WaveLimiterHint : 0
; COMPUTE_PGM_RSRC2:SCRATCH_EN: 0
; COMPUTE_PGM_RSRC2:USER_SGPR: 6
; COMPUTE_PGM_RSRC2:TRAP_HANDLER: 0
; COMPUTE_PGM_RSRC2:TGID_X_EN: 1
; COMPUTE_PGM_RSRC2:TGID_Y_EN: 0
; COMPUTE_PGM_RSRC2:TGID_Z_EN: 0
; COMPUTE_PGM_RSRC2:TIDIG_COMP_CNT: 0
	.section	.text._Z6kernelI9histogramILN6hipcub23BlockHistogramAlgorithmE0EEiLj256ELj4ELj256ELj100EEvPKT0_PS4_,"axG",@progbits,_Z6kernelI9histogramILN6hipcub23BlockHistogramAlgorithmE0EEiLj256ELj4ELj256ELj100EEvPKT0_PS4_,comdat
	.protected	_Z6kernelI9histogramILN6hipcub23BlockHistogramAlgorithmE0EEiLj256ELj4ELj256ELj100EEvPKT0_PS4_ ; -- Begin function _Z6kernelI9histogramILN6hipcub23BlockHistogramAlgorithmE0EEiLj256ELj4ELj256ELj100EEvPKT0_PS4_
	.globl	_Z6kernelI9histogramILN6hipcub23BlockHistogramAlgorithmE0EEiLj256ELj4ELj256ELj100EEvPKT0_PS4_
	.p2align	8
	.type	_Z6kernelI9histogramILN6hipcub23BlockHistogramAlgorithmE0EEiLj256ELj4ELj256ELj100EEvPKT0_PS4_,@function
_Z6kernelI9histogramILN6hipcub23BlockHistogramAlgorithmE0EEiLj256ELj4ELj256ELj100EEvPKT0_PS4_: ; @_Z6kernelI9histogramILN6hipcub23BlockHistogramAlgorithmE0EEiLj256ELj4ELj256ELj100EEvPKT0_PS4_
; %bb.0:
	s_load_dwordx4 s[68:71], s[4:5], 0x0
	v_lshlrev_b32_e32 v3, 2, v0
	v_lshl_or_b32 v1, s6, 10, v3
	v_mov_b32_e32 v2, 0
	v_lshlrev_b64 v[4:5], 2, v[1:2]
	s_waitcnt lgkmcnt(0)
	v_mov_b32_e32 v1, s69
	v_add_co_u32_e32 v4, vcc, s68, v4
	v_addc_co_u32_e32 v5, vcc, v1, v5, vcc
	global_load_dwordx4 v[7:10], v[4:5], off
	v_mov_b32_e32 v17, v2
	v_mov_b32_e32 v23, v2
	;; [unrolled: 1-line block ×14, first 2 shown]
	s_movk_i32 s7, 0x100
	v_cmp_gt_u32_e64 s[56:57], s7, v0
	s_movk_i32 s7, 0x64
	s_waitcnt vmcnt(0)
	v_lshlrev_b32_e32 v18, 27, v7
	v_lshlrev_b32_e32 v24, 24, v7
	;; [unrolled: 1-line block ×7, first 2 shown]
	v_cmp_gt_i64_e64 s[4:5], 0, v[17:18]
	v_cmp_gt_i64_e64 s[10:11], 0, v[23:24]
	v_not_b32_e32 v17, v24
	v_cmp_gt_i64_e64 s[24:25], 0, v[37:38]
	v_not_b32_e32 v24, v38
	v_mov_b32_e32 v38, v2
	v_lshlrev_b32_e32 v28, 29, v8
	v_lshlrev_b32_e32 v40, 28, v9
	v_cmp_gt_i64_e32 vcc, 0, v[11:12]
	v_not_b32_e32 v11, v12
	v_cmp_gt_i64_e64 s[0:1], 0, v[13:14]
	v_not_b32_e32 v12, v14
	v_not_b32_e32 v14, v18
	v_cmp_gt_i64_e64 s[12:13], 0, v[25:26]
	v_not_b32_e32 v18, v26
	v_cmp_gt_i64_e64 s[28:29], 0, v[38:39]
	v_not_b32_e32 v26, v39
	v_mov_b32_e32 v39, v2
	v_lshlrev_b32_e32 v20, 26, v7
	v_lshlrev_b32_e32 v41, 27, v9
	v_cmp_gt_i64_e64 s[14:15], 0, v[27:28]
	v_cmp_gt_i64_e64 s[30:31], 0, v[39:40]
	v_not_b32_e32 v27, v40
	v_mov_b32_e32 v40, v2
	v_and_b32_e32 v51, 1, v8
	v_and_b32_e32 v53, 1, v9
	v_lshlrev_b32_e32 v4, 2, v8
	v_lshlrev_b32_e32 v5, 2, v9
	;; [unrolled: 1-line block ×12, first 2 shown]
	v_cmp_gt_i64_e64 s[66:67], 0, v[19:20]
	v_not_b32_e32 v19, v28
	v_cmp_gt_i64_e64 s[34:35], 0, v[40:41]
	v_not_b32_e32 v28, v41
	v_mov_b32_e32 v41, v2
	v_and_b32_e32 v50, 1, v7
	v_lshlrev_b32_e32 v1, 2, v7
	v_lshlrev_b32_e32 v22, 25, v7
	;; [unrolled: 1-line block ×4, first 2 shown]
	v_cmp_gt_i64_e64 s[2:3], 0, v[15:16]
	v_not_b32_e32 v15, v20
	v_cmp_gt_i64_e64 s[16:17], 0, v[29:30]
	v_cmp_gt_i64_e64 s[18:19], 0, v[31:32]
	;; [unrolled: 1-line block ×3, first 2 shown]
	v_not_b32_e32 v23, v36
	v_mov_b32_e32 v7, v2
	v_cmp_gt_i64_e64 s[36:37], 0, v[41:42]
	v_not_b32_e32 v29, v42
	v_mov_b32_e32 v42, v2
	v_not_b32_e32 v31, v9
	v_not_b32_e32 v35, v47
	;; [unrolled: 1-line block ×3, first 2 shown]
	v_cmp_gt_i64_e64 s[8:9], 0, v[21:22]
	v_not_b32_e32 v16, v22
	v_not_b32_e32 v20, v30
	;; [unrolled: 1-line block ×3, first 2 shown]
	v_cmp_gt_i64_e64 s[26:27], 0, v[7:8]
	v_not_b32_e32 v25, v8
	v_cmp_gt_i64_e64 s[38:39], 0, v[42:43]
	v_not_b32_e32 v30, v43
	v_mov_b32_e32 v8, v2
	v_mov_b32_e32 v43, v2
	v_not_b32_e32 v32, v44
	v_not_b32_e32 v36, v48
	v_ashrrev_i32_e32 v7, 31, v11
	v_ashrrev_i32_e32 v11, 31, v15
	;; [unrolled: 1-line block ×7, first 2 shown]
	v_add_co_u32_e64 v35, s[68:69], -1, v50
	v_lshlrev_b32_e32 v45, 29, v10
	v_cmp_gt_i64_e64 s[40:41], 0, v[8:9]
	v_cmp_gt_i64_e64 s[42:43], 0, v[43:44]
	v_mov_b32_e32 v44, v2
	v_ashrrev_i32_e32 v8, 31, v12
	v_ashrrev_i32_e32 v12, 31, v16
	v_ashrrev_i32_e32 v16, 31, v20
	v_ashrrev_i32_e32 v20, 31, v24
	v_ashrrev_i32_e32 v24, 31, v28
	v_ashrrev_i32_e32 v28, 31, v32
	v_ashrrev_i32_e32 v32, 31, v36
	v_addc_co_u32_e64 v36, s[68:69], 0, -1, s[68:69]
	v_lshlrev_b32_e32 v46, 28, v10
	v_cmp_gt_i64_e64 s[20:21], 0, v[33:34]
	v_cmp_gt_i64_e64 s[44:45], 0, v[44:45]
	v_not_b32_e32 v33, v45
	v_mov_b32_e32 v45, v2
	v_add_co_u32_e64 v44, s[68:69], -1, v51
	v_not_b32_e32 v22, v34
	v_cmp_gt_i64_e64 s[46:47], 0, v[45:46]
	v_not_b32_e32 v34, v46
	v_mov_b32_e32 v46, v2
	v_addc_co_u32_e64 v45, s[68:69], 0, -1, s[68:69]
	v_and_b32_e32 v62, 1, v10
	v_lshlrev_b32_e32 v6, 2, v10
	v_lshlrev_b32_e32 v49, 25, v10
	;; [unrolled: 1-line block ×3, first 2 shown]
	v_cmp_gt_i64_e64 s[48:49], 0, v[46:47]
	v_mov_b32_e32 v47, v2
	v_cmp_eq_u32_e64 s[62:63], 1, v53
	v_add_co_u32_e64 v53, s[68:69], -1, v53
	v_cmp_gt_i64_e64 s[50:51], 0, v[47:48]
	v_mov_b32_e32 v48, v2
	v_not_b32_e32 v37, v49
	v_mov_b32_e32 v9, v2
	v_not_b32_e32 v38, v10
	v_addc_co_u32_e64 v54, s[68:69], 0, -1, s[68:69]
	v_cmp_gt_i64_e64 s[52:53], 0, v[48:49]
	v_cmp_gt_i64_e64 s[54:55], 0, v[9:10]
	v_ashrrev_i32_e32 v9, 31, v13
	v_ashrrev_i32_e32 v10, 31, v14
	;; [unrolled: 1-line block ×10, first 2 shown]
	v_cmp_eq_u32_e64 s[64:65], 1, v62
	v_ashrrev_i32_e32 v29, 31, v33
	v_ashrrev_i32_e32 v30, 31, v34
	;; [unrolled: 1-line block ×4, first 2 shown]
	v_add_co_u32_e64 v62, s[68:69], -1, v62
	v_cmp_eq_u32_e64 s[58:59], 1, v50
	v_cmp_eq_u32_e64 s[60:61], 1, v51
	v_mov_b32_e32 v37, v7
	v_mov_b32_e32 v38, v8
	v_mov_b32_e32 v39, v9
	v_mov_b32_e32 v40, v10
	v_mov_b32_e32 v41, v11
	v_mov_b32_e32 v42, v12
	v_mov_b32_e32 v43, v13
	v_mov_b32_e32 v46, v14
	v_mov_b32_e32 v47, v15
	v_mov_b32_e32 v48, v16
	v_mov_b32_e32 v49, v17
	v_mov_b32_e32 v50, v18
	v_mov_b32_e32 v51, v19
	v_mov_b32_e32 v52, v20
	v_mov_b32_e32 v55, v21
	v_mov_b32_e32 v56, v22
	v_mov_b32_e32 v57, v23
	v_mov_b32_e32 v58, v24
	v_mov_b32_e32 v59, v25
	v_mov_b32_e32 v60, v26
	v_mov_b32_e32 v61, v27
	v_addc_co_u32_e64 v63, s[68:69], 0, -1, s[68:69]
	v_mov_b32_e32 v64, v28
	v_mov_b32_e32 v65, v29
	v_mov_b32_e32 v66, v30
	v_mov_b32_e32 v67, v31
	v_mov_b32_e32 v68, v32
	v_mov_b32_e32 v69, v33
	v_mov_b32_e32 v70, v34
	s_branch .LBB3_2
.LBB3_1:                                ;   in Loop: Header=BB3_2 Depth=1
	s_or_b64 exec, exec, s[72:73]
	s_add_i32 s7, s7, -1
	s_cmp_eq_u32 s7, 0
	s_waitcnt lgkmcnt(0)
	s_barrier
	s_cbranch_scc1 .LBB3_12
.LBB3_2:                                ; =>This Inner Loop Header: Depth=1
	s_and_saveexec_b64 s[68:69], s[56:57]
; %bb.3:                                ;   in Loop: Header=BB3_2 Depth=1
	ds_write_b32 v3, v2
; %bb.4:                                ;   in Loop: Header=BB3_2 Depth=1
	s_or_b64 exec, exec, s[68:69]
	v_cndmask_b32_e64 v71, 0, 1, s[58:59]
	v_cmp_ne_u32_e64 s[68:69], 0, v71
	v_cndmask_b32_e64 v73, 0, 1, vcc
	v_xor_b32_e32 v71, s69, v36
	v_xor_b32_e32 v72, s68, v35
	v_cmp_ne_u32_e64 s[68:69], 0, v73
	v_and_b32_e32 v71, exec_hi, v71
	v_xor_b32_e32 v73, s69, v37
	v_and_b32_e32 v71, v71, v73
	v_cndmask_b32_e64 v73, 0, 1, s[0:1]
	v_xor_b32_e32 v74, s68, v7
	v_cmp_ne_u32_e64 s[68:69], 0, v73
	v_xor_b32_e32 v73, s69, v38
	v_and_b32_e32 v72, exec_lo, v72
	v_and_b32_e32 v71, v71, v73
	v_cndmask_b32_e64 v73, 0, 1, s[2:3]
	v_and_b32_e32 v72, v72, v74
	v_xor_b32_e32 v74, s68, v8
	v_cmp_ne_u32_e64 s[68:69], 0, v73
	v_xor_b32_e32 v73, s69, v39
	v_and_b32_e32 v71, v71, v73
	v_cndmask_b32_e64 v73, 0, 1, s[4:5]
	v_and_b32_e32 v72, v72, v74
	v_xor_b32_e32 v74, s68, v9
	v_cmp_ne_u32_e64 s[68:69], 0, v73
	v_xor_b32_e32 v73, s69, v40
	;; [unrolled: 6-line block ×4, first 2 shown]
	v_and_b32_e32 v71, v71, v73
	v_cndmask_b32_e64 v73, 0, 1, s[10:11]
	v_and_b32_e32 v72, v72, v74
	v_xor_b32_e32 v74, s68, v12
	v_cmp_ne_u32_e64 s[68:69], 0, v73
	v_and_b32_e32 v72, v72, v74
	v_xor_b32_e32 v74, s68, v13
	v_xor_b32_e32 v73, s69, v43
	v_and_b32_e32 v72, v72, v74
	v_and_b32_e32 v71, v71, v73
	v_mbcnt_lo_u32_b32 v73, v72, 0
	v_mbcnt_hi_u32_b32 v73, v71, v73
	v_cmp_eq_u32_e64 s[68:69], 0, v73
	s_waitcnt lgkmcnt(0)
	s_barrier
	s_and_saveexec_b64 s[72:73], s[68:69]
; %bb.5:                                ;   in Loop: Header=BB3_2 Depth=1
	v_bcnt_u32_b32 v72, v72, 0
	v_bcnt_u32_b32 v71, v71, v72
	ds_add_u32 v1, v71
; %bb.6:                                ;   in Loop: Header=BB3_2 Depth=1
	s_or_b64 exec, exec, s[72:73]
	v_cndmask_b32_e64 v71, 0, 1, s[60:61]
	v_cmp_ne_u32_e64 s[68:69], 0, v71
	v_cndmask_b32_e64 v73, 0, 1, s[12:13]
	v_xor_b32_e32 v71, s69, v45
	v_xor_b32_e32 v72, s68, v44
	v_cmp_ne_u32_e64 s[68:69], 0, v73
	v_and_b32_e32 v71, exec_hi, v71
	v_xor_b32_e32 v73, s69, v46
	v_and_b32_e32 v71, v71, v73
	v_cndmask_b32_e64 v73, 0, 1, s[14:15]
	v_xor_b32_e32 v74, s68, v14
	v_cmp_ne_u32_e64 s[68:69], 0, v73
	v_xor_b32_e32 v73, s69, v47
	v_and_b32_e32 v72, exec_lo, v72
	v_and_b32_e32 v71, v71, v73
	v_cndmask_b32_e64 v73, 0, 1, s[16:17]
	v_and_b32_e32 v72, v72, v74
	v_xor_b32_e32 v74, s68, v15
	v_cmp_ne_u32_e64 s[68:69], 0, v73
	v_xor_b32_e32 v73, s69, v48
	v_and_b32_e32 v71, v71, v73
	v_cndmask_b32_e64 v73, 0, 1, s[18:19]
	v_and_b32_e32 v72, v72, v74
	v_xor_b32_e32 v74, s68, v16
	v_cmp_ne_u32_e64 s[68:69], 0, v73
	v_xor_b32_e32 v73, s69, v49
	;; [unrolled: 6-line block ×4, first 2 shown]
	v_and_b32_e32 v71, v71, v73
	v_cndmask_b32_e64 v73, 0, 1, s[24:25]
	v_and_b32_e32 v72, v72, v74
	v_xor_b32_e32 v74, s68, v19
	v_cmp_ne_u32_e64 s[68:69], 0, v73
	v_and_b32_e32 v72, v72, v74
	v_xor_b32_e32 v74, s68, v20
	v_xor_b32_e32 v73, s69, v52
	v_and_b32_e32 v72, v72, v74
	v_and_b32_e32 v71, v71, v73
	v_mbcnt_lo_u32_b32 v73, v72, 0
	v_mbcnt_hi_u32_b32 v73, v71, v73
	v_cmp_eq_u32_e64 s[68:69], 0, v73
	s_and_saveexec_b64 s[72:73], s[68:69]
; %bb.7:                                ;   in Loop: Header=BB3_2 Depth=1
	v_bcnt_u32_b32 v72, v72, 0
	v_bcnt_u32_b32 v71, v71, v72
	ds_add_u32 v4, v71
; %bb.8:                                ;   in Loop: Header=BB3_2 Depth=1
	s_or_b64 exec, exec, s[72:73]
	v_cndmask_b32_e64 v71, 0, 1, s[62:63]
	v_cmp_ne_u32_e64 s[68:69], 0, v71
	v_cndmask_b32_e64 v73, 0, 1, s[26:27]
	v_xor_b32_e32 v71, s69, v54
	v_xor_b32_e32 v72, s68, v53
	v_cmp_ne_u32_e64 s[68:69], 0, v73
	v_and_b32_e32 v71, exec_hi, v71
	v_xor_b32_e32 v73, s69, v55
	v_and_b32_e32 v71, v71, v73
	v_cndmask_b32_e64 v73, 0, 1, s[28:29]
	v_xor_b32_e32 v74, s68, v21
	v_cmp_ne_u32_e64 s[68:69], 0, v73
	v_xor_b32_e32 v73, s69, v56
	v_and_b32_e32 v72, exec_lo, v72
	v_and_b32_e32 v71, v71, v73
	v_cndmask_b32_e64 v73, 0, 1, s[30:31]
	v_and_b32_e32 v72, v72, v74
	v_xor_b32_e32 v74, s68, v22
	v_cmp_ne_u32_e64 s[68:69], 0, v73
	v_xor_b32_e32 v73, s69, v57
	v_and_b32_e32 v71, v71, v73
	v_cndmask_b32_e64 v73, 0, 1, s[34:35]
	v_and_b32_e32 v72, v72, v74
	v_xor_b32_e32 v74, s68, v23
	v_cmp_ne_u32_e64 s[68:69], 0, v73
	v_xor_b32_e32 v73, s69, v58
	;; [unrolled: 6-line block ×4, first 2 shown]
	v_and_b32_e32 v71, v71, v73
	v_cndmask_b32_e64 v73, 0, 1, s[40:41]
	v_and_b32_e32 v72, v72, v74
	v_xor_b32_e32 v74, s68, v26
	v_cmp_ne_u32_e64 s[68:69], 0, v73
	v_and_b32_e32 v72, v72, v74
	v_xor_b32_e32 v74, s68, v27
	v_xor_b32_e32 v73, s69, v61
	v_and_b32_e32 v72, v72, v74
	v_and_b32_e32 v71, v71, v73
	v_mbcnt_lo_u32_b32 v73, v72, 0
	v_mbcnt_hi_u32_b32 v73, v71, v73
	v_cmp_eq_u32_e64 s[68:69], 0, v73
	s_and_saveexec_b64 s[72:73], s[68:69]
; %bb.9:                                ;   in Loop: Header=BB3_2 Depth=1
	v_bcnt_u32_b32 v72, v72, 0
	v_bcnt_u32_b32 v71, v71, v72
	ds_add_u32 v5, v71
; %bb.10:                               ;   in Loop: Header=BB3_2 Depth=1
	s_or_b64 exec, exec, s[72:73]
	v_cndmask_b32_e64 v71, 0, 1, s[64:65]
	v_cmp_ne_u32_e64 s[68:69], 0, v71
	v_cndmask_b32_e64 v73, 0, 1, s[42:43]
	v_xor_b32_e32 v71, s69, v63
	v_xor_b32_e32 v72, s68, v62
	v_cmp_ne_u32_e64 s[68:69], 0, v73
	v_and_b32_e32 v71, exec_hi, v71
	v_xor_b32_e32 v73, s69, v64
	v_and_b32_e32 v71, v71, v73
	v_cndmask_b32_e64 v73, 0, 1, s[44:45]
	v_xor_b32_e32 v74, s68, v28
	v_cmp_ne_u32_e64 s[68:69], 0, v73
	v_xor_b32_e32 v73, s69, v65
	v_and_b32_e32 v72, exec_lo, v72
	v_and_b32_e32 v71, v71, v73
	v_cndmask_b32_e64 v73, 0, 1, s[46:47]
	v_and_b32_e32 v72, v72, v74
	v_xor_b32_e32 v74, s68, v29
	v_cmp_ne_u32_e64 s[68:69], 0, v73
	v_xor_b32_e32 v73, s69, v66
	v_and_b32_e32 v71, v71, v73
	v_cndmask_b32_e64 v73, 0, 1, s[48:49]
	v_and_b32_e32 v72, v72, v74
	v_xor_b32_e32 v74, s68, v30
	v_cmp_ne_u32_e64 s[68:69], 0, v73
	v_xor_b32_e32 v73, s69, v67
	;; [unrolled: 6-line block ×4, first 2 shown]
	v_and_b32_e32 v71, v71, v73
	v_cndmask_b32_e64 v73, 0, 1, s[54:55]
	v_and_b32_e32 v72, v72, v74
	v_xor_b32_e32 v74, s68, v33
	v_cmp_ne_u32_e64 s[68:69], 0, v73
	v_and_b32_e32 v72, v72, v74
	v_xor_b32_e32 v74, s68, v34
	v_xor_b32_e32 v73, s69, v70
	v_and_b32_e32 v72, v72, v74
	v_and_b32_e32 v71, v71, v73
	v_mbcnt_lo_u32_b32 v73, v72, 0
	v_mbcnt_hi_u32_b32 v73, v71, v73
	v_cmp_eq_u32_e64 s[68:69], 0, v73
	s_and_saveexec_b64 s[72:73], s[68:69]
	s_cbranch_execz .LBB3_1
; %bb.11:                               ;   in Loop: Header=BB3_2 Depth=1
	v_bcnt_u32_b32 v72, v72, 0
	v_bcnt_u32_b32 v71, v71, v72
	ds_add_u32 v6, v71
	s_branch .LBB3_1
.LBB3_12:
	s_and_saveexec_b64 s[0:1], s[56:57]
	s_cbranch_execz .LBB3_14
; %bb.13:
	v_lshl_or_b32 v0, s6, 8, v0
	v_mov_b32_e32 v1, 0
	ds_read_b32 v3, v3
	v_lshlrev_b64 v[0:1], 2, v[0:1]
	v_mov_b32_e32 v2, s71
	v_add_co_u32_e32 v0, vcc, s70, v0
	v_addc_co_u32_e32 v1, vcc, v2, v1, vcc
	s_waitcnt lgkmcnt(0)
	global_store_dword v[0:1], v3, off
.LBB3_14:
	s_endpgm
	.section	.rodata,"a",@progbits
	.p2align	6, 0x0
	.amdhsa_kernel _Z6kernelI9histogramILN6hipcub23BlockHistogramAlgorithmE0EEiLj256ELj4ELj256ELj100EEvPKT0_PS4_
		.amdhsa_group_segment_fixed_size 1024
		.amdhsa_private_segment_fixed_size 0
		.amdhsa_kernarg_size 16
		.amdhsa_user_sgpr_count 6
		.amdhsa_user_sgpr_private_segment_buffer 1
		.amdhsa_user_sgpr_dispatch_ptr 0
		.amdhsa_user_sgpr_queue_ptr 0
		.amdhsa_user_sgpr_kernarg_segment_ptr 1
		.amdhsa_user_sgpr_dispatch_id 0
		.amdhsa_user_sgpr_flat_scratch_init 0
		.amdhsa_user_sgpr_private_segment_size 0
		.amdhsa_uses_dynamic_stack 0
		.amdhsa_system_sgpr_private_segment_wavefront_offset 0
		.amdhsa_system_sgpr_workgroup_id_x 1
		.amdhsa_system_sgpr_workgroup_id_y 0
		.amdhsa_system_sgpr_workgroup_id_z 0
		.amdhsa_system_sgpr_workgroup_info 0
		.amdhsa_system_vgpr_workitem_id 0
		.amdhsa_next_free_vgpr 75
		.amdhsa_next_free_sgpr 74
		.amdhsa_reserve_vcc 1
		.amdhsa_reserve_flat_scratch 0
		.amdhsa_float_round_mode_32 0
		.amdhsa_float_round_mode_16_64 0
		.amdhsa_float_denorm_mode_32 3
		.amdhsa_float_denorm_mode_16_64 3
		.amdhsa_dx10_clamp 1
		.amdhsa_ieee_mode 1
		.amdhsa_fp16_overflow 0
		.amdhsa_exception_fp_ieee_invalid_op 0
		.amdhsa_exception_fp_denorm_src 0
		.amdhsa_exception_fp_ieee_div_zero 0
		.amdhsa_exception_fp_ieee_overflow 0
		.amdhsa_exception_fp_ieee_underflow 0
		.amdhsa_exception_fp_ieee_inexact 0
		.amdhsa_exception_int_div_zero 0
	.end_amdhsa_kernel
	.section	.text._Z6kernelI9histogramILN6hipcub23BlockHistogramAlgorithmE0EEiLj256ELj4ELj256ELj100EEvPKT0_PS4_,"axG",@progbits,_Z6kernelI9histogramILN6hipcub23BlockHistogramAlgorithmE0EEiLj256ELj4ELj256ELj100EEvPKT0_PS4_,comdat
.Lfunc_end3:
	.size	_Z6kernelI9histogramILN6hipcub23BlockHistogramAlgorithmE0EEiLj256ELj4ELj256ELj100EEvPKT0_PS4_, .Lfunc_end3-_Z6kernelI9histogramILN6hipcub23BlockHistogramAlgorithmE0EEiLj256ELj4ELj256ELj100EEvPKT0_PS4_
                                        ; -- End function
	.set _Z6kernelI9histogramILN6hipcub23BlockHistogramAlgorithmE0EEiLj256ELj4ELj256ELj100EEvPKT0_PS4_.num_vgpr, 75
	.set _Z6kernelI9histogramILN6hipcub23BlockHistogramAlgorithmE0EEiLj256ELj4ELj256ELj100EEvPKT0_PS4_.num_agpr, 0
	.set _Z6kernelI9histogramILN6hipcub23BlockHistogramAlgorithmE0EEiLj256ELj4ELj256ELj100EEvPKT0_PS4_.numbered_sgpr, 74
	.set _Z6kernelI9histogramILN6hipcub23BlockHistogramAlgorithmE0EEiLj256ELj4ELj256ELj100EEvPKT0_PS4_.num_named_barrier, 0
	.set _Z6kernelI9histogramILN6hipcub23BlockHistogramAlgorithmE0EEiLj256ELj4ELj256ELj100EEvPKT0_PS4_.private_seg_size, 0
	.set _Z6kernelI9histogramILN6hipcub23BlockHistogramAlgorithmE0EEiLj256ELj4ELj256ELj100EEvPKT0_PS4_.uses_vcc, 1
	.set _Z6kernelI9histogramILN6hipcub23BlockHistogramAlgorithmE0EEiLj256ELj4ELj256ELj100EEvPKT0_PS4_.uses_flat_scratch, 0
	.set _Z6kernelI9histogramILN6hipcub23BlockHistogramAlgorithmE0EEiLj256ELj4ELj256ELj100EEvPKT0_PS4_.has_dyn_sized_stack, 0
	.set _Z6kernelI9histogramILN6hipcub23BlockHistogramAlgorithmE0EEiLj256ELj4ELj256ELj100EEvPKT0_PS4_.has_recursion, 0
	.set _Z6kernelI9histogramILN6hipcub23BlockHistogramAlgorithmE0EEiLj256ELj4ELj256ELj100EEvPKT0_PS4_.has_indirect_call, 0
	.section	.AMDGPU.csdata,"",@progbits
; Kernel info:
; codeLenInByte = 2352
; TotalNumSgprs: 78
; NumVgprs: 75
; ScratchSize: 0
; MemoryBound: 0
; FloatMode: 240
; IeeeMode: 1
; LDSByteSize: 1024 bytes/workgroup (compile time only)
; SGPRBlocks: 9
; VGPRBlocks: 18
; NumSGPRsForWavesPerEU: 78
; NumVGPRsForWavesPerEU: 75
; Occupancy: 3
; WaveLimiterHint : 0
; COMPUTE_PGM_RSRC2:SCRATCH_EN: 0
; COMPUTE_PGM_RSRC2:USER_SGPR: 6
; COMPUTE_PGM_RSRC2:TRAP_HANDLER: 0
; COMPUTE_PGM_RSRC2:TGID_X_EN: 1
; COMPUTE_PGM_RSRC2:TGID_Y_EN: 0
; COMPUTE_PGM_RSRC2:TGID_Z_EN: 0
; COMPUTE_PGM_RSRC2:TIDIG_COMP_CNT: 0
	.section	.text._Z6kernelI9histogramILN6hipcub23BlockHistogramAlgorithmE0EEiLj256ELj8ELj256ELj100EEvPKT0_PS4_,"axG",@progbits,_Z6kernelI9histogramILN6hipcub23BlockHistogramAlgorithmE0EEiLj256ELj8ELj256ELj100EEvPKT0_PS4_,comdat
	.protected	_Z6kernelI9histogramILN6hipcub23BlockHistogramAlgorithmE0EEiLj256ELj8ELj256ELj100EEvPKT0_PS4_ ; -- Begin function _Z6kernelI9histogramILN6hipcub23BlockHistogramAlgorithmE0EEiLj256ELj8ELj256ELj100EEvPKT0_PS4_
	.globl	_Z6kernelI9histogramILN6hipcub23BlockHistogramAlgorithmE0EEiLj256ELj8ELj256ELj100EEvPKT0_PS4_
	.p2align	8
	.type	_Z6kernelI9histogramILN6hipcub23BlockHistogramAlgorithmE0EEiLj256ELj8ELj256ELj100EEvPKT0_PS4_,@function
_Z6kernelI9histogramILN6hipcub23BlockHistogramAlgorithmE0EEiLj256ELj8ELj256ELj100EEvPKT0_PS4_: ; @_Z6kernelI9histogramILN6hipcub23BlockHistogramAlgorithmE0EEiLj256ELj8ELj256ELj100EEvPKT0_PS4_
; %bb.0:
	s_load_dwordx4 s[0:3], s[4:5], 0x0
	v_lshlrev_b32_e32 v1, 3, v0
	v_lshl_or_b32 v8, s6, 11, v1
	v_mov_b32_e32 v9, 0
                                        ; implicit-def: $vgpr143 : SGPR spill to VGPR lane
	v_lshlrev_b64 v[1:2], 2, v[8:9]
	v_writelane_b32 v143, s6, 0
	s_waitcnt lgkmcnt(0)
	v_add_co_u32_e32 v10, vcc, s0, v1
	v_writelane_b32 v143, s0, 1
	v_mov_b32_e32 v1, s1
	v_addc_co_u32_e32 v11, vcc, v1, v2, vcc
	global_load_dwordx4 v[1:4], v[10:11], off offset:16
	global_load_dwordx4 v[5:8], v[10:11], off
	v_writelane_b32 v143, s1, 2
	v_writelane_b32 v143, s2, 3
	;; [unrolled: 1-line block ×3, first 2 shown]
	s_movk_i32 s0, 0x100
	v_cmp_gt_u32_e64 s[0:1], s0, v0
	v_writelane_b32 v143, s0, 5
	v_writelane_b32 v143, s1, 6
	v_mov_b32_e32 v14, v9
	v_mov_b32_e32 v16, v9
	;; [unrolled: 1-line block ×48, first 2 shown]
	s_movk_i32 s33, 0x64
	s_waitcnt vmcnt(1)
	v_and_b32_e32 v76, 1, v1
	s_waitcnt vmcnt(0)
	v_and_b32_e32 v12, 1, v5
	v_add_co_u32_e32 v10, vcc, -1, v12
	v_addc_co_u32_e64 v11, s[0:1], 0, -1, vcc
	v_cmp_eq_u32_e64 s[0:1], 1, v12
	v_writelane_b32 v143, s0, 7
	v_lshlrev_b32_e32 v13, 30, v5
	v_mov_b32_e32 v12, v9
	v_writelane_b32 v143, s1, 8
	v_cmp_gt_i64_e64 s[0:1], 0, v[12:13]
	v_lshlrev_b32_e32 v15, 29, v5
	v_writelane_b32 v143, s0, 9
	v_writelane_b32 v143, s1, 10
	v_cmp_gt_i64_e64 s[0:1], 0, v[14:15]
	v_lshlrev_b32_e32 v17, 28, v5
	v_writelane_b32 v143, s0, 11
	;; [unrolled: 4-line block ×6, first 2 shown]
	v_writelane_b32 v143, s1, 20
	v_cmp_gt_i64_e64 s[0:1], 0, v[24:25]
	v_and_b32_e32 v28, 1, v6
	v_writelane_b32 v143, s0, 21
	v_add_co_u32_e32 v26, vcc, -1, v28
	v_writelane_b32 v143, s1, 22
	v_addc_co_u32_e64 v27, s[0:1], 0, -1, vcc
	v_cmp_eq_u32_e64 s[0:1], 1, v28
	v_writelane_b32 v143, s0, 23
	v_lshlrev_b32_e32 v29, 30, v6
	v_mov_b32_e32 v28, v9
	v_writelane_b32 v143, s1, 24
	v_cmp_gt_i64_e64 s[0:1], 0, v[28:29]
	v_lshlrev_b32_e32 v31, 29, v6
	v_writelane_b32 v143, s0, 25
	v_writelane_b32 v143, s1, 26
	v_cmp_gt_i64_e64 s[0:1], 0, v[30:31]
	v_lshlrev_b32_e32 v33, 28, v6
	v_writelane_b32 v143, s0, 27
	;; [unrolled: 4-line block ×6, first 2 shown]
	v_writelane_b32 v143, s1, 36
	v_cmp_gt_i64_e64 s[0:1], 0, v[40:41]
	v_and_b32_e32 v44, 1, v7
	v_writelane_b32 v143, s0, 37
	v_add_co_u32_e32 v42, vcc, -1, v44
	v_writelane_b32 v143, s1, 38
	v_addc_co_u32_e64 v43, s[0:1], 0, -1, vcc
	v_cmp_eq_u32_e64 s[0:1], 1, v44
	v_writelane_b32 v143, s0, 39
	v_lshlrev_b32_e32 v45, 30, v7
	v_mov_b32_e32 v44, v9
	v_writelane_b32 v143, s1, 40
	v_cmp_gt_i64_e64 s[0:1], 0, v[44:45]
	v_and_b32_e32 v60, 1, v8
	v_writelane_b32 v143, s0, 41
	v_add_co_u32_e32 v58, vcc, -1, v60
	v_writelane_b32 v143, s1, 42
	v_addc_co_u32_e64 v59, s[0:1], 0, -1, vcc
	v_add_co_u32_e32 v74, vcc, -1, v76
	v_and_b32_e32 v92, 1, v2
	v_addc_co_u32_e64 v75, s[0:1], 0, -1, vcc
	v_add_co_u32_e32 v90, vcc, -1, v92
	v_and_b32_e32 v108, 1, v3
	v_lshlrev_b32_e32 v131, 27, v4
	v_lshlrev_b32_e32 v134, 26, v4
	v_addc_co_u32_e64 v91, s[0:1], 0, -1, vcc
	v_add_co_u32_e32 v106, vcc, -1, v108
	v_and_b32_e32 v124, 1, v4
	v_cmp_gt_i64_e64 s[26:27], 0, v[130:131]
	v_not_b32_e32 v130, v131
	v_not_b32_e32 v131, v134
	v_lshlrev_b32_e32 v136, 25, v4
	v_lshlrev_b32_e32 v47, 29, v7
	;; [unrolled: 1-line block ×7, first 2 shown]
	v_cmp_eq_u32_e64 s[50:51], 1, v60
	v_lshlrev_b32_e32 v61, 30, v8
	v_mov_b32_e32 v60, v9
	v_lshlrev_b32_e32 v63, 29, v8
	v_lshlrev_b32_e32 v65, 28, v8
	v_lshlrev_b32_e32 v67, 27, v8
	v_lshlrev_b32_e32 v69, 26, v8
	v_lshlrev_b32_e32 v71, 25, v8
	v_lshlrev_b32_e32 v73, 24, v8
	v_cmp_eq_u32_e64 s[66:67], 1, v76
	v_lshlrev_b32_e32 v77, 30, v1
	v_mov_b32_e32 v76, v9
	v_lshlrev_b32_e32 v79, 29, v1
	v_lshlrev_b32_e32 v81, 28, v1
	v_lshlrev_b32_e32 v83, 27, v1
	v_lshlrev_b32_e32 v85, 26, v1
	v_lshlrev_b32_e32 v87, 25, v1
	v_lshlrev_b32_e32 v89, 24, v1
	;; [unrolled: 9-line block ×3, first 2 shown]
	v_addc_co_u32_e64 v107, s[0:1], 0, -1, vcc
	v_cmp_eq_u32_e64 s[4:5], 1, v108
	v_lshlrev_b32_e32 v109, 30, v3
	v_mov_b32_e32 v108, v9
	v_lshlrev_b32_e32 v111, 29, v3
	v_lshlrev_b32_e32 v113, 28, v3
	;; [unrolled: 1-line block ×6, first 2 shown]
	v_add_co_u32_e32 v122, vcc, -1, v124
	v_cmp_eq_u32_e64 s[18:19], 1, v124
	v_lshlrev_b32_e32 v125, 30, v4
	v_mov_b32_e32 v124, v9
	v_lshlrev_b32_e32 v127, 29, v4
	v_lshlrev_b32_e32 v129, 28, v4
	v_cmp_gt_i64_e64 s[28:29], 0, v[133:134]
	v_ashrrev_i32_e32 v133, 31, v131
	v_not_b32_e32 v131, v136
	v_lshlrev_b32_e32 v138, 24, v4
	v_not_b32_e32 v12, v13
	v_not_b32_e32 v14, v15
	;; [unrolled: 1-line block ×15, first 2 shown]
	v_cmp_gt_i64_e64 s[38:39], 0, v[46:47]
	v_not_b32_e32 v46, v47
	v_cmp_gt_i64_e64 s[40:41], 0, v[48:49]
	v_not_b32_e32 v48, v49
	;; [unrolled: 2-line block ×37, first 2 shown]
	v_cmp_gt_i64_e64 s[30:31], 0, v[135:136]
	v_ashrrev_i32_e32 v135, 31, v131
	v_not_b32_e32 v131, v138
	v_ashrrev_i32_e32 v12, 31, v12
	v_ashrrev_i32_e32 v14, 31, v14
	;; [unrolled: 1-line block ×53, first 2 shown]
	v_cmp_gt_i64_e64 s[36:37], 0, v[137:138]
	v_ashrrev_i32_e32 v137, 31, v131
	v_mov_b32_e32 v13, v12
	v_mov_b32_e32 v15, v14
	;; [unrolled: 1-line block ×49, first 2 shown]
	v_addc_co_u32_e64 v123, s[6:7], 0, -1, vcc
	v_mov_b32_e32 v125, v124
	v_mov_b32_e32 v127, v126
	;; [unrolled: 1-line block ×7, first 2 shown]
	v_lshlrev_b32_e32 v131, 2, v0
	v_lshlrev_b32_e32 v5, 2, v5
	;; [unrolled: 1-line block ×9, first 2 shown]
	s_branch .LBB4_2
.LBB4_1:                                ;   in Loop: Header=BB4_2 Depth=1
	s_or_b64 exec, exec, s[6:7]
	s_add_i32 s33, s33, -1
	s_cmp_eq_u32 s33, 0
	s_waitcnt lgkmcnt(0)
	s_barrier
	s_cbranch_scc1 .LBB4_20
.LBB4_2:                                ; =>This Inner Loop Header: Depth=1
	s_mov_b64 s[6:7], exec
	v_readlane_b32 vcc_lo, v143, 5
	v_readlane_b32 vcc_hi, v143, 6
	s_and_b64 vcc, s[6:7], vcc
	s_mov_b64 exec, vcc
; %bb.3:                                ;   in Loop: Header=BB4_2 Depth=1
	ds_write_b32 v131, v9
; %bb.4:                                ;   in Loop: Header=BB4_2 Depth=1
	s_or_b64 exec, exec, s[6:7]
	v_readlane_b32 s6, v143, 7
	v_readlane_b32 s7, v143, 8
	v_cndmask_b32_e64 v139, 0, 1, s[6:7]
	v_readlane_b32 s6, v143, 9
	v_readlane_b32 s7, v143, 10
	v_cmp_ne_u32_e32 vcc, 0, v139
	v_cndmask_b32_e64 v141, 0, 1, s[6:7]
	v_xor_b32_e32 v139, vcc_hi, v11
	v_xor_b32_e32 v140, vcc_lo, v10
	v_cmp_ne_u32_e32 vcc, 0, v141
	v_readlane_b32 s6, v143, 11
	v_and_b32_e32 v139, exec_hi, v139
	v_xor_b32_e32 v141, vcc_hi, v13
	v_readlane_b32 s7, v143, 12
	v_and_b32_e32 v139, v139, v141
	v_cndmask_b32_e64 v141, 0, 1, s[6:7]
	v_xor_b32_e32 v142, vcc_lo, v12
	v_cmp_ne_u32_e32 vcc, 0, v141
	v_readlane_b32 s6, v143, 13
	v_xor_b32_e32 v141, vcc_hi, v15
	v_readlane_b32 s7, v143, 14
	v_and_b32_e32 v140, exec_lo, v140
	v_and_b32_e32 v139, v139, v141
	v_cndmask_b32_e64 v141, 0, 1, s[6:7]
	v_and_b32_e32 v140, v140, v142
	v_xor_b32_e32 v142, vcc_lo, v14
	v_cmp_ne_u32_e32 vcc, 0, v141
	v_readlane_b32 s6, v143, 15
	v_xor_b32_e32 v141, vcc_hi, v17
	v_readlane_b32 s7, v143, 16
	v_and_b32_e32 v139, v139, v141
	v_cndmask_b32_e64 v141, 0, 1, s[6:7]
	v_and_b32_e32 v140, v140, v142
	v_xor_b32_e32 v142, vcc_lo, v16
	v_cmp_ne_u32_e32 vcc, 0, v141
	v_readlane_b32 s6, v143, 17
	v_xor_b32_e32 v141, vcc_hi, v19
	v_readlane_b32 s7, v143, 18
	;; [unrolled: 8-line block ×4, first 2 shown]
	v_and_b32_e32 v139, v139, v141
	v_cndmask_b32_e64 v141, 0, 1, s[6:7]
	v_and_b32_e32 v140, v140, v142
	v_xor_b32_e32 v142, vcc_lo, v22
	v_cmp_ne_u32_e32 vcc, 0, v141
	v_and_b32_e32 v140, v140, v142
	v_xor_b32_e32 v142, vcc_lo, v24
	v_xor_b32_e32 v141, vcc_hi, v25
	v_and_b32_e32 v140, v140, v142
	v_and_b32_e32 v139, v139, v141
	v_mbcnt_lo_u32_b32 v141, v140, 0
	v_mbcnt_hi_u32_b32 v141, v139, v141
	v_cmp_eq_u32_e32 vcc, 0, v141
	s_waitcnt lgkmcnt(0)
	s_barrier
	s_and_saveexec_b64 s[6:7], vcc
; %bb.5:                                ;   in Loop: Header=BB4_2 Depth=1
	v_bcnt_u32_b32 v140, v140, 0
	v_bcnt_u32_b32 v139, v139, v140
	ds_add_u32 v5, v139
; %bb.6:                                ;   in Loop: Header=BB4_2 Depth=1
	s_or_b64 exec, exec, s[6:7]
	v_readlane_b32 s6, v143, 23
	v_readlane_b32 s7, v143, 24
	v_cndmask_b32_e64 v139, 0, 1, s[6:7]
	v_readlane_b32 s6, v143, 25
	v_readlane_b32 s7, v143, 26
	v_cmp_ne_u32_e32 vcc, 0, v139
	v_cndmask_b32_e64 v141, 0, 1, s[6:7]
	v_xor_b32_e32 v139, vcc_hi, v27
	v_xor_b32_e32 v140, vcc_lo, v26
	v_cmp_ne_u32_e32 vcc, 0, v141
	v_readlane_b32 s6, v143, 27
	v_and_b32_e32 v139, exec_hi, v139
	v_xor_b32_e32 v141, vcc_hi, v29
	v_readlane_b32 s7, v143, 28
	v_and_b32_e32 v139, v139, v141
	v_cndmask_b32_e64 v141, 0, 1, s[6:7]
	v_xor_b32_e32 v142, vcc_lo, v28
	v_cmp_ne_u32_e32 vcc, 0, v141
	v_readlane_b32 s6, v143, 29
	v_xor_b32_e32 v141, vcc_hi, v31
	v_readlane_b32 s7, v143, 30
	v_and_b32_e32 v140, exec_lo, v140
	v_and_b32_e32 v139, v139, v141
	v_cndmask_b32_e64 v141, 0, 1, s[6:7]
	v_and_b32_e32 v140, v140, v142
	v_xor_b32_e32 v142, vcc_lo, v30
	v_cmp_ne_u32_e32 vcc, 0, v141
	v_readlane_b32 s6, v143, 31
	v_xor_b32_e32 v141, vcc_hi, v33
	v_readlane_b32 s7, v143, 32
	v_and_b32_e32 v139, v139, v141
	v_cndmask_b32_e64 v141, 0, 1, s[6:7]
	v_and_b32_e32 v140, v140, v142
	v_xor_b32_e32 v142, vcc_lo, v32
	v_cmp_ne_u32_e32 vcc, 0, v141
	v_readlane_b32 s6, v143, 33
	v_xor_b32_e32 v141, vcc_hi, v35
	v_readlane_b32 s7, v143, 34
	;; [unrolled: 8-line block ×4, first 2 shown]
	v_and_b32_e32 v139, v139, v141
	v_cndmask_b32_e64 v141, 0, 1, s[6:7]
	v_and_b32_e32 v140, v140, v142
	v_xor_b32_e32 v142, vcc_lo, v38
	v_cmp_ne_u32_e32 vcc, 0, v141
	v_and_b32_e32 v140, v140, v142
	v_xor_b32_e32 v142, vcc_lo, v40
	v_xor_b32_e32 v141, vcc_hi, v41
	v_and_b32_e32 v140, v140, v142
	v_and_b32_e32 v139, v139, v141
	v_mbcnt_lo_u32_b32 v141, v140, 0
	v_mbcnt_hi_u32_b32 v141, v139, v141
	v_cmp_eq_u32_e32 vcc, 0, v141
	s_and_saveexec_b64 s[6:7], vcc
; %bb.7:                                ;   in Loop: Header=BB4_2 Depth=1
	v_bcnt_u32_b32 v140, v140, 0
	v_bcnt_u32_b32 v139, v139, v140
	ds_add_u32 v6, v139
; %bb.8:                                ;   in Loop: Header=BB4_2 Depth=1
	s_or_b64 exec, exec, s[6:7]
	v_readlane_b32 s6, v143, 39
	v_readlane_b32 s7, v143, 40
	v_cndmask_b32_e64 v139, 0, 1, s[6:7]
	v_readlane_b32 s6, v143, 41
	v_readlane_b32 s7, v143, 42
	v_cmp_ne_u32_e32 vcc, 0, v139
	v_cndmask_b32_e64 v141, 0, 1, s[6:7]
	v_xor_b32_e32 v139, vcc_hi, v43
	v_xor_b32_e32 v140, vcc_lo, v42
	v_cmp_ne_u32_e32 vcc, 0, v141
	v_and_b32_e32 v139, exec_hi, v139
	v_xor_b32_e32 v141, vcc_hi, v45
	v_and_b32_e32 v139, v139, v141
	v_cndmask_b32_e64 v141, 0, 1, s[38:39]
	v_xor_b32_e32 v142, vcc_lo, v44
	v_cmp_ne_u32_e32 vcc, 0, v141
	v_xor_b32_e32 v141, vcc_hi, v47
	v_and_b32_e32 v140, exec_lo, v140
	v_and_b32_e32 v139, v139, v141
	v_cndmask_b32_e64 v141, 0, 1, s[40:41]
	v_and_b32_e32 v140, v140, v142
	v_xor_b32_e32 v142, vcc_lo, v46
	v_cmp_ne_u32_e32 vcc, 0, v141
	v_xor_b32_e32 v141, vcc_hi, v49
	v_and_b32_e32 v139, v139, v141
	v_cndmask_b32_e64 v141, 0, 1, s[42:43]
	v_and_b32_e32 v140, v140, v142
	v_xor_b32_e32 v142, vcc_lo, v48
	v_cmp_ne_u32_e32 vcc, 0, v141
	v_xor_b32_e32 v141, vcc_hi, v51
	;; [unrolled: 6-line block ×4, first 2 shown]
	v_and_b32_e32 v139, v139, v141
	v_cndmask_b32_e64 v141, 0, 1, s[48:49]
	v_and_b32_e32 v140, v140, v142
	v_xor_b32_e32 v142, vcc_lo, v54
	v_cmp_ne_u32_e32 vcc, 0, v141
	v_and_b32_e32 v140, v140, v142
	v_xor_b32_e32 v142, vcc_lo, v56
	v_xor_b32_e32 v141, vcc_hi, v57
	v_and_b32_e32 v140, v140, v142
	v_and_b32_e32 v139, v139, v141
	v_mbcnt_lo_u32_b32 v141, v140, 0
	v_mbcnt_hi_u32_b32 v141, v139, v141
	v_cmp_eq_u32_e32 vcc, 0, v141
	s_and_saveexec_b64 s[6:7], vcc
; %bb.9:                                ;   in Loop: Header=BB4_2 Depth=1
	v_bcnt_u32_b32 v140, v140, 0
	v_bcnt_u32_b32 v139, v139, v140
	ds_add_u32 v7, v139
; %bb.10:                               ;   in Loop: Header=BB4_2 Depth=1
	s_or_b64 exec, exec, s[6:7]
	v_cndmask_b32_e64 v139, 0, 1, s[50:51]
	v_cmp_ne_u32_e32 vcc, 0, v139
	v_cndmask_b32_e64 v141, 0, 1, s[52:53]
	v_xor_b32_e32 v139, vcc_hi, v59
	v_xor_b32_e32 v140, vcc_lo, v58
	v_cmp_ne_u32_e32 vcc, 0, v141
	v_and_b32_e32 v139, exec_hi, v139
	v_xor_b32_e32 v141, vcc_hi, v61
	v_and_b32_e32 v139, v139, v141
	v_cndmask_b32_e64 v141, 0, 1, s[54:55]
	v_xor_b32_e32 v142, vcc_lo, v60
	v_cmp_ne_u32_e32 vcc, 0, v141
	v_xor_b32_e32 v141, vcc_hi, v63
	v_and_b32_e32 v140, exec_lo, v140
	v_and_b32_e32 v139, v139, v141
	v_cndmask_b32_e64 v141, 0, 1, s[56:57]
	v_and_b32_e32 v140, v140, v142
	v_xor_b32_e32 v142, vcc_lo, v62
	v_cmp_ne_u32_e32 vcc, 0, v141
	v_xor_b32_e32 v141, vcc_hi, v65
	v_and_b32_e32 v139, v139, v141
	v_cndmask_b32_e64 v141, 0, 1, s[58:59]
	v_and_b32_e32 v140, v140, v142
	v_xor_b32_e32 v142, vcc_lo, v64
	v_cmp_ne_u32_e32 vcc, 0, v141
	v_xor_b32_e32 v141, vcc_hi, v67
	v_and_b32_e32 v139, v139, v141
	v_cndmask_b32_e64 v141, 0, 1, s[60:61]
	v_and_b32_e32 v140, v140, v142
	v_xor_b32_e32 v142, vcc_lo, v66
	v_cmp_ne_u32_e32 vcc, 0, v141
	v_xor_b32_e32 v141, vcc_hi, v69
	v_and_b32_e32 v139, v139, v141
	v_cndmask_b32_e64 v141, 0, 1, s[62:63]
	v_and_b32_e32 v140, v140, v142
	v_xor_b32_e32 v142, vcc_lo, v68
	v_cmp_ne_u32_e32 vcc, 0, v141
	v_xor_b32_e32 v141, vcc_hi, v71
	v_and_b32_e32 v139, v139, v141
	v_cndmask_b32_e64 v141, 0, 1, s[64:65]
	v_and_b32_e32 v140, v140, v142
	v_xor_b32_e32 v142, vcc_lo, v70
	v_cmp_ne_u32_e32 vcc, 0, v141
	v_and_b32_e32 v140, v140, v142
	v_xor_b32_e32 v142, vcc_lo, v72
	v_xor_b32_e32 v141, vcc_hi, v73
	v_and_b32_e32 v140, v140, v142
	v_and_b32_e32 v139, v139, v141
	v_mbcnt_lo_u32_b32 v141, v140, 0
	v_mbcnt_hi_u32_b32 v141, v139, v141
	v_cmp_eq_u32_e32 vcc, 0, v141
	s_and_saveexec_b64 s[6:7], vcc
; %bb.11:                               ;   in Loop: Header=BB4_2 Depth=1
	v_bcnt_u32_b32 v140, v140, 0
	v_bcnt_u32_b32 v139, v139, v140
	ds_add_u32 v8, v139
; %bb.12:                               ;   in Loop: Header=BB4_2 Depth=1
	s_or_b64 exec, exec, s[6:7]
	v_cndmask_b32_e64 v139, 0, 1, s[66:67]
	v_cmp_ne_u32_e32 vcc, 0, v139
	v_cndmask_b32_e64 v141, 0, 1, s[68:69]
	v_xor_b32_e32 v139, vcc_hi, v75
	v_xor_b32_e32 v140, vcc_lo, v74
	v_cmp_ne_u32_e32 vcc, 0, v141
	v_and_b32_e32 v139, exec_hi, v139
	v_xor_b32_e32 v141, vcc_hi, v77
	v_and_b32_e32 v139, v139, v141
	v_cndmask_b32_e64 v141, 0, 1, s[70:71]
	v_xor_b32_e32 v142, vcc_lo, v76
	v_cmp_ne_u32_e32 vcc, 0, v141
	v_xor_b32_e32 v141, vcc_hi, v79
	v_and_b32_e32 v140, exec_lo, v140
	v_and_b32_e32 v139, v139, v141
	v_cndmask_b32_e64 v141, 0, 1, s[72:73]
	v_and_b32_e32 v140, v140, v142
	v_xor_b32_e32 v142, vcc_lo, v78
	v_cmp_ne_u32_e32 vcc, 0, v141
	v_xor_b32_e32 v141, vcc_hi, v81
	v_and_b32_e32 v139, v139, v141
	v_cndmask_b32_e64 v141, 0, 1, s[74:75]
	v_and_b32_e32 v140, v140, v142
	v_xor_b32_e32 v142, vcc_lo, v80
	v_cmp_ne_u32_e32 vcc, 0, v141
	v_xor_b32_e32 v141, vcc_hi, v83
	v_and_b32_e32 v139, v139, v141
	v_cndmask_b32_e64 v141, 0, 1, s[76:77]
	v_and_b32_e32 v140, v140, v142
	v_xor_b32_e32 v142, vcc_lo, v82
	v_cmp_ne_u32_e32 vcc, 0, v141
	v_xor_b32_e32 v141, vcc_hi, v85
	v_and_b32_e32 v139, v139, v141
	v_cndmask_b32_e64 v141, 0, 1, s[78:79]
	v_and_b32_e32 v140, v140, v142
	v_xor_b32_e32 v142, vcc_lo, v84
	v_cmp_ne_u32_e32 vcc, 0, v141
	v_xor_b32_e32 v141, vcc_hi, v87
	v_and_b32_e32 v139, v139, v141
	v_cndmask_b32_e64 v141, 0, 1, s[80:81]
	v_and_b32_e32 v140, v140, v142
	v_xor_b32_e32 v142, vcc_lo, v86
	v_cmp_ne_u32_e32 vcc, 0, v141
	v_and_b32_e32 v140, v140, v142
	v_xor_b32_e32 v142, vcc_lo, v88
	v_xor_b32_e32 v141, vcc_hi, v89
	v_and_b32_e32 v140, v140, v142
	v_and_b32_e32 v139, v139, v141
	v_mbcnt_lo_u32_b32 v141, v140, 0
	v_mbcnt_hi_u32_b32 v141, v139, v141
	v_cmp_eq_u32_e32 vcc, 0, v141
	s_and_saveexec_b64 s[6:7], vcc
; %bb.13:                               ;   in Loop: Header=BB4_2 Depth=1
	v_bcnt_u32_b32 v140, v140, 0
	v_bcnt_u32_b32 v139, v139, v140
	ds_add_u32 v1, v139
; %bb.14:                               ;   in Loop: Header=BB4_2 Depth=1
	s_or_b64 exec, exec, s[6:7]
	v_cndmask_b32_e64 v139, 0, 1, s[82:83]
	v_cmp_ne_u32_e32 vcc, 0, v139
	v_cndmask_b32_e64 v141, 0, 1, s[84:85]
	v_xor_b32_e32 v139, vcc_hi, v91
	v_xor_b32_e32 v140, vcc_lo, v90
	v_cmp_ne_u32_e32 vcc, 0, v141
	v_and_b32_e32 v139, exec_hi, v139
	v_xor_b32_e32 v141, vcc_hi, v93
	v_and_b32_e32 v139, v139, v141
	v_cndmask_b32_e64 v141, 0, 1, s[86:87]
	v_xor_b32_e32 v142, vcc_lo, v92
	v_cmp_ne_u32_e32 vcc, 0, v141
	v_xor_b32_e32 v141, vcc_hi, v95
	v_and_b32_e32 v140, exec_lo, v140
	v_and_b32_e32 v139, v139, v141
	v_cndmask_b32_e64 v141, 0, 1, s[88:89]
	v_and_b32_e32 v140, v140, v142
	v_xor_b32_e32 v142, vcc_lo, v94
	v_cmp_ne_u32_e32 vcc, 0, v141
	v_xor_b32_e32 v141, vcc_hi, v97
	v_and_b32_e32 v139, v139, v141
	v_cndmask_b32_e64 v141, 0, 1, s[90:91]
	v_and_b32_e32 v140, v140, v142
	v_xor_b32_e32 v142, vcc_lo, v96
	v_cmp_ne_u32_e32 vcc, 0, v141
	v_xor_b32_e32 v141, vcc_hi, v99
	v_and_b32_e32 v139, v139, v141
	v_cndmask_b32_e64 v141, 0, 1, s[92:93]
	v_and_b32_e32 v140, v140, v142
	v_xor_b32_e32 v142, vcc_lo, v98
	v_cmp_ne_u32_e32 vcc, 0, v141
	v_xor_b32_e32 v141, vcc_hi, v101
	v_and_b32_e32 v139, v139, v141
	v_cndmask_b32_e64 v141, 0, 1, s[94:95]
	v_and_b32_e32 v140, v140, v142
	v_xor_b32_e32 v142, vcc_lo, v100
	v_cmp_ne_u32_e32 vcc, 0, v141
	v_xor_b32_e32 v141, vcc_hi, v103
	v_and_b32_e32 v139, v139, v141
	v_cndmask_b32_e64 v141, 0, 1, s[2:3]
	v_and_b32_e32 v140, v140, v142
	v_xor_b32_e32 v142, vcc_lo, v102
	v_cmp_ne_u32_e32 vcc, 0, v141
	v_and_b32_e32 v140, v140, v142
	v_xor_b32_e32 v142, vcc_lo, v104
	v_xor_b32_e32 v141, vcc_hi, v105
	v_and_b32_e32 v140, v140, v142
	v_and_b32_e32 v139, v139, v141
	v_mbcnt_lo_u32_b32 v141, v140, 0
	v_mbcnt_hi_u32_b32 v141, v139, v141
	v_cmp_eq_u32_e32 vcc, 0, v141
	s_and_saveexec_b64 s[6:7], vcc
; %bb.15:                               ;   in Loop: Header=BB4_2 Depth=1
	v_bcnt_u32_b32 v140, v140, 0
	v_bcnt_u32_b32 v139, v139, v140
	ds_add_u32 v2, v139
; %bb.16:                               ;   in Loop: Header=BB4_2 Depth=1
	s_or_b64 exec, exec, s[6:7]
	v_cndmask_b32_e64 v139, 0, 1, s[4:5]
	v_cmp_ne_u32_e32 vcc, 0, v139
	v_cndmask_b32_e64 v141, 0, 1, s[34:35]
	v_xor_b32_e32 v139, vcc_hi, v107
	v_xor_b32_e32 v140, vcc_lo, v106
	v_cmp_ne_u32_e32 vcc, 0, v141
	v_and_b32_e32 v139, exec_hi, v139
	v_xor_b32_e32 v141, vcc_hi, v109
	v_and_b32_e32 v139, v139, v141
	v_cndmask_b32_e64 v141, 0, 1, s[0:1]
	v_xor_b32_e32 v142, vcc_lo, v108
	v_cmp_ne_u32_e32 vcc, 0, v141
	v_xor_b32_e32 v141, vcc_hi, v111
	v_and_b32_e32 v140, exec_lo, v140
	v_and_b32_e32 v139, v139, v141
	v_cndmask_b32_e64 v141, 0, 1, s[8:9]
	v_and_b32_e32 v140, v140, v142
	v_xor_b32_e32 v142, vcc_lo, v110
	v_cmp_ne_u32_e32 vcc, 0, v141
	v_xor_b32_e32 v141, vcc_hi, v113
	v_and_b32_e32 v139, v139, v141
	v_cndmask_b32_e64 v141, 0, 1, s[10:11]
	v_and_b32_e32 v140, v140, v142
	v_xor_b32_e32 v142, vcc_lo, v112
	v_cmp_ne_u32_e32 vcc, 0, v141
	v_xor_b32_e32 v141, vcc_hi, v115
	v_and_b32_e32 v139, v139, v141
	v_cndmask_b32_e64 v141, 0, 1, s[12:13]
	v_and_b32_e32 v140, v140, v142
	v_xor_b32_e32 v142, vcc_lo, v114
	v_cmp_ne_u32_e32 vcc, 0, v141
	v_xor_b32_e32 v141, vcc_hi, v117
	v_and_b32_e32 v139, v139, v141
	v_cndmask_b32_e64 v141, 0, 1, s[14:15]
	v_and_b32_e32 v140, v140, v142
	v_xor_b32_e32 v142, vcc_lo, v116
	v_cmp_ne_u32_e32 vcc, 0, v141
	v_xor_b32_e32 v141, vcc_hi, v119
	v_and_b32_e32 v139, v139, v141
	v_cndmask_b32_e64 v141, 0, 1, s[16:17]
	v_and_b32_e32 v140, v140, v142
	v_xor_b32_e32 v142, vcc_lo, v118
	v_cmp_ne_u32_e32 vcc, 0, v141
	v_and_b32_e32 v140, v140, v142
	v_xor_b32_e32 v142, vcc_lo, v120
	v_xor_b32_e32 v141, vcc_hi, v121
	v_and_b32_e32 v140, v140, v142
	v_and_b32_e32 v139, v139, v141
	v_mbcnt_lo_u32_b32 v141, v140, 0
	v_mbcnt_hi_u32_b32 v141, v139, v141
	v_cmp_eq_u32_e32 vcc, 0, v141
	s_and_saveexec_b64 s[6:7], vcc
; %bb.17:                               ;   in Loop: Header=BB4_2 Depth=1
	v_bcnt_u32_b32 v140, v140, 0
	v_bcnt_u32_b32 v139, v139, v140
	ds_add_u32 v3, v139
; %bb.18:                               ;   in Loop: Header=BB4_2 Depth=1
	s_or_b64 exec, exec, s[6:7]
	v_cndmask_b32_e64 v139, 0, 1, s[18:19]
	v_cmp_ne_u32_e32 vcc, 0, v139
	v_cndmask_b32_e64 v141, 0, 1, s[20:21]
	v_xor_b32_e32 v139, vcc_hi, v123
	v_xor_b32_e32 v140, vcc_lo, v122
	v_cmp_ne_u32_e32 vcc, 0, v141
	v_and_b32_e32 v139, exec_hi, v139
	v_xor_b32_e32 v141, vcc_hi, v125
	v_and_b32_e32 v139, v139, v141
	v_cndmask_b32_e64 v141, 0, 1, s[22:23]
	v_xor_b32_e32 v142, vcc_lo, v124
	v_cmp_ne_u32_e32 vcc, 0, v141
	v_xor_b32_e32 v141, vcc_hi, v127
	v_and_b32_e32 v140, exec_lo, v140
	v_and_b32_e32 v139, v139, v141
	v_cndmask_b32_e64 v141, 0, 1, s[24:25]
	v_and_b32_e32 v140, v140, v142
	v_xor_b32_e32 v142, vcc_lo, v126
	v_cmp_ne_u32_e32 vcc, 0, v141
	v_xor_b32_e32 v141, vcc_hi, v129
	v_and_b32_e32 v139, v139, v141
	v_cndmask_b32_e64 v141, 0, 1, s[26:27]
	v_and_b32_e32 v140, v140, v142
	v_xor_b32_e32 v142, vcc_lo, v128
	v_cmp_ne_u32_e32 vcc, 0, v141
	v_xor_b32_e32 v141, vcc_hi, v132
	v_and_b32_e32 v139, v139, v141
	v_cndmask_b32_e64 v141, 0, 1, s[28:29]
	v_and_b32_e32 v140, v140, v142
	v_xor_b32_e32 v142, vcc_lo, v130
	v_cmp_ne_u32_e32 vcc, 0, v141
	v_xor_b32_e32 v141, vcc_hi, v134
	v_and_b32_e32 v139, v139, v141
	v_cndmask_b32_e64 v141, 0, 1, s[30:31]
	v_and_b32_e32 v140, v140, v142
	v_xor_b32_e32 v142, vcc_lo, v133
	v_cmp_ne_u32_e32 vcc, 0, v141
	v_xor_b32_e32 v141, vcc_hi, v136
	v_and_b32_e32 v139, v139, v141
	v_cndmask_b32_e64 v141, 0, 1, s[36:37]
	v_and_b32_e32 v140, v140, v142
	v_xor_b32_e32 v142, vcc_lo, v135
	v_cmp_ne_u32_e32 vcc, 0, v141
	v_and_b32_e32 v140, v140, v142
	v_xor_b32_e32 v142, vcc_lo, v137
	v_xor_b32_e32 v141, vcc_hi, v138
	v_and_b32_e32 v140, v140, v142
	v_and_b32_e32 v139, v139, v141
	v_mbcnt_lo_u32_b32 v141, v140, 0
	v_mbcnt_hi_u32_b32 v141, v139, v141
	v_cmp_eq_u32_e32 vcc, 0, v141
	s_and_saveexec_b64 s[6:7], vcc
	s_cbranch_execz .LBB4_1
; %bb.19:                               ;   in Loop: Header=BB4_2 Depth=1
	v_bcnt_u32_b32 v140, v140, 0
	v_bcnt_u32_b32 v139, v139, v140
	ds_add_u32 v4, v139
	s_branch .LBB4_1
.LBB4_20:
	v_readlane_b32 s2, v143, 5
	v_readlane_b32 s3, v143, 6
	s_and_saveexec_b64 s[0:1], s[2:3]
	s_cbranch_execz .LBB4_22
; %bb.21:
	v_readlane_b32 s0, v143, 0
	v_lshl_or_b32 v0, s0, 8, v0
	v_mov_b32_e32 v1, 0
	ds_read_b32 v3, v131
	v_lshlrev_b64 v[0:1], 2, v[0:1]
	v_readlane_b32 s0, v143, 1
	v_readlane_b32 s2, v143, 3
	;; [unrolled: 1-line block ×3, first 2 shown]
	v_mov_b32_e32 v2, s3
	v_add_co_u32_e32 v0, vcc, s2, v0
	v_addc_co_u32_e32 v1, vcc, v2, v1, vcc
	v_readlane_b32 s1, v143, 2
	s_waitcnt lgkmcnt(0)
	global_store_dword v[0:1], v3, off
.LBB4_22:
	s_endpgm
	.section	.rodata,"a",@progbits
	.p2align	6, 0x0
	.amdhsa_kernel _Z6kernelI9histogramILN6hipcub23BlockHistogramAlgorithmE0EEiLj256ELj8ELj256ELj100EEvPKT0_PS4_
		.amdhsa_group_segment_fixed_size 1024
		.amdhsa_private_segment_fixed_size 0
		.amdhsa_kernarg_size 16
		.amdhsa_user_sgpr_count 6
		.amdhsa_user_sgpr_private_segment_buffer 1
		.amdhsa_user_sgpr_dispatch_ptr 0
		.amdhsa_user_sgpr_queue_ptr 0
		.amdhsa_user_sgpr_kernarg_segment_ptr 1
		.amdhsa_user_sgpr_dispatch_id 0
		.amdhsa_user_sgpr_flat_scratch_init 0
		.amdhsa_user_sgpr_private_segment_size 0
		.amdhsa_uses_dynamic_stack 0
		.amdhsa_system_sgpr_private_segment_wavefront_offset 0
		.amdhsa_system_sgpr_workgroup_id_x 1
		.amdhsa_system_sgpr_workgroup_id_y 0
		.amdhsa_system_sgpr_workgroup_id_z 0
		.amdhsa_system_sgpr_workgroup_info 0
		.amdhsa_system_vgpr_workitem_id 0
		.amdhsa_next_free_vgpr 144
		.amdhsa_next_free_sgpr 96
		.amdhsa_reserve_vcc 1
		.amdhsa_reserve_flat_scratch 0
		.amdhsa_float_round_mode_32 0
		.amdhsa_float_round_mode_16_64 0
		.amdhsa_float_denorm_mode_32 3
		.amdhsa_float_denorm_mode_16_64 3
		.amdhsa_dx10_clamp 1
		.amdhsa_ieee_mode 1
		.amdhsa_fp16_overflow 0
		.amdhsa_exception_fp_ieee_invalid_op 0
		.amdhsa_exception_fp_denorm_src 0
		.amdhsa_exception_fp_ieee_div_zero 0
		.amdhsa_exception_fp_ieee_overflow 0
		.amdhsa_exception_fp_ieee_underflow 0
		.amdhsa_exception_fp_ieee_inexact 0
		.amdhsa_exception_int_div_zero 0
	.end_amdhsa_kernel
	.section	.text._Z6kernelI9histogramILN6hipcub23BlockHistogramAlgorithmE0EEiLj256ELj8ELj256ELj100EEvPKT0_PS4_,"axG",@progbits,_Z6kernelI9histogramILN6hipcub23BlockHistogramAlgorithmE0EEiLj256ELj8ELj256ELj100EEvPKT0_PS4_,comdat
.Lfunc_end4:
	.size	_Z6kernelI9histogramILN6hipcub23BlockHistogramAlgorithmE0EEiLj256ELj8ELj256ELj100EEvPKT0_PS4_, .Lfunc_end4-_Z6kernelI9histogramILN6hipcub23BlockHistogramAlgorithmE0EEiLj256ELj8ELj256ELj100EEvPKT0_PS4_
                                        ; -- End function
	.set _Z6kernelI9histogramILN6hipcub23BlockHistogramAlgorithmE0EEiLj256ELj8ELj256ELj100EEvPKT0_PS4_.num_vgpr, 144
	.set _Z6kernelI9histogramILN6hipcub23BlockHistogramAlgorithmE0EEiLj256ELj8ELj256ELj100EEvPKT0_PS4_.num_agpr, 0
	.set _Z6kernelI9histogramILN6hipcub23BlockHistogramAlgorithmE0EEiLj256ELj8ELj256ELj100EEvPKT0_PS4_.numbered_sgpr, 96
	.set _Z6kernelI9histogramILN6hipcub23BlockHistogramAlgorithmE0EEiLj256ELj8ELj256ELj100EEvPKT0_PS4_.num_named_barrier, 0
	.set _Z6kernelI9histogramILN6hipcub23BlockHistogramAlgorithmE0EEiLj256ELj8ELj256ELj100EEvPKT0_PS4_.private_seg_size, 0
	.set _Z6kernelI9histogramILN6hipcub23BlockHistogramAlgorithmE0EEiLj256ELj8ELj256ELj100EEvPKT0_PS4_.uses_vcc, 1
	.set _Z6kernelI9histogramILN6hipcub23BlockHistogramAlgorithmE0EEiLj256ELj8ELj256ELj100EEvPKT0_PS4_.uses_flat_scratch, 0
	.set _Z6kernelI9histogramILN6hipcub23BlockHistogramAlgorithmE0EEiLj256ELj8ELj256ELj100EEvPKT0_PS4_.has_dyn_sized_stack, 0
	.set _Z6kernelI9histogramILN6hipcub23BlockHistogramAlgorithmE0EEiLj256ELj8ELj256ELj100EEvPKT0_PS4_.has_recursion, 0
	.set _Z6kernelI9histogramILN6hipcub23BlockHistogramAlgorithmE0EEiLj256ELj8ELj256ELj100EEvPKT0_PS4_.has_indirect_call, 0
	.section	.AMDGPU.csdata,"",@progbits
; Kernel info:
; codeLenInByte = 4924
; TotalNumSgprs: 100
; NumVgprs: 144
; ScratchSize: 0
; MemoryBound: 0
; FloatMode: 240
; IeeeMode: 1
; LDSByteSize: 1024 bytes/workgroup (compile time only)
; SGPRBlocks: 12
; VGPRBlocks: 35
; NumSGPRsForWavesPerEU: 100
; NumVGPRsForWavesPerEU: 144
; Occupancy: 1
; WaveLimiterHint : 0
; COMPUTE_PGM_RSRC2:SCRATCH_EN: 0
; COMPUTE_PGM_RSRC2:USER_SGPR: 6
; COMPUTE_PGM_RSRC2:TRAP_HANDLER: 0
; COMPUTE_PGM_RSRC2:TGID_X_EN: 1
; COMPUTE_PGM_RSRC2:TGID_Y_EN: 0
; COMPUTE_PGM_RSRC2:TGID_Z_EN: 0
; COMPUTE_PGM_RSRC2:TIDIG_COMP_CNT: 0
	.section	.text._Z6kernelI9histogramILN6hipcub23BlockHistogramAlgorithmE0EEiLj256ELj16ELj256ELj100EEvPKT0_PS4_,"axG",@progbits,_Z6kernelI9histogramILN6hipcub23BlockHistogramAlgorithmE0EEiLj256ELj16ELj256ELj100EEvPKT0_PS4_,comdat
	.protected	_Z6kernelI9histogramILN6hipcub23BlockHistogramAlgorithmE0EEiLj256ELj16ELj256ELj100EEvPKT0_PS4_ ; -- Begin function _Z6kernelI9histogramILN6hipcub23BlockHistogramAlgorithmE0EEiLj256ELj16ELj256ELj100EEvPKT0_PS4_
	.globl	_Z6kernelI9histogramILN6hipcub23BlockHistogramAlgorithmE0EEiLj256ELj16ELj256ELj100EEvPKT0_PS4_
	.p2align	8
	.type	_Z6kernelI9histogramILN6hipcub23BlockHistogramAlgorithmE0EEiLj256ELj16ELj256ELj100EEvPKT0_PS4_,@function
_Z6kernelI9histogramILN6hipcub23BlockHistogramAlgorithmE0EEiLj256ELj16ELj256ELj100EEvPKT0_PS4_: ; @_Z6kernelI9histogramILN6hipcub23BlockHistogramAlgorithmE0EEiLj256ELj16ELj256ELj100EEvPKT0_PS4_
; %bb.0:
	s_mov_b64 s[98:99], s[2:3]
	s_mov_b64 s[96:97], s[0:1]
	s_load_dwordx4 s[0:3], s[4:5], 0x0
	s_add_u32 s96, s96, s7
	v_lshlrev_b32_e32 v1, 4, v0
	s_addc_u32 s97, s97, 0
	v_lshl_or_b32 v8, s6, 12, v1
	v_mov_b32_e32 v9, 0
	buffer_store_dword v0, off, s[96:99], 0 offset:100 ; 4-byte Folded Spill
                                        ; implicit-def: $vgpr253 : SGPR spill to VGPR lane
	v_lshlrev_b64 v[0:1], 2, v[8:9]
	v_writelane_b32 v253, s6, 0
	s_waitcnt lgkmcnt(0)
	v_mov_b32_e32 v2, s1
	v_writelane_b32 v253, s0, 1
	v_add_co_u32_e32 v10, vcc, s0, v0
	v_addc_co_u32_e32 v11, vcc, v2, v1, vcc
	global_load_dwordx4 v[1:4], v[10:11], off
	global_load_dwordx4 v[5:8], v[10:11], off offset:16
	global_load_dwordx4 v[13:16], v[10:11], off offset:32
	;; [unrolled: 1-line block ×3, first 2 shown]
	v_writelane_b32 v253, s1, 2
	v_writelane_b32 v253, s2, 3
	v_mov_b32_e32 v147, v9
	v_writelane_b32 v253, s3, 4
                                        ; implicit-def: $vgpr254 : SGPR spill to VGPR lane
	v_mov_b32_e32 v145, v9
	v_mov_b32_e32 v143, v9
	;; [unrolled: 1-line block ×25, first 2 shown]
                                        ; implicit-def: $vgpr255 : SGPR spill to VGPR lane
	v_mov_b32_e32 v204, v9
	v_mov_b32_e32 v209, v9
	;; [unrolled: 1-line block ×17, first 2 shown]
	s_movk_i32 s6, 0x100
	s_movk_i32 s33, 0x64
	s_waitcnt vmcnt(3)
	v_lshlrev_b32_e32 v148, 30, v1
	v_lshlrev_b32_e32 v0, 2, v1
	v_cmp_gt_i64_e64 s[0:1], 0, v[147:148]
	buffer_store_dword v0, off, s[96:99], 0 offset:36 ; 4-byte Folded Spill
	v_lshlrev_b32_e32 v0, 2, v2
	v_lshlrev_b32_e32 v149, 29, v1
	buffer_store_dword v0, off, s[96:99], 0 offset:40 ; 4-byte Folded Spill
	v_and_b32_e32 v40, 1, v3
	v_lshlrev_b32_e32 v0, 2, v3
	v_lshlrev_b32_e32 v161, 30, v3
	;; [unrolled: 1-line block ×8, first 2 shown]
	v_writelane_b32 v253, s0, 5
	v_not_b32_e32 v3, v148
	v_mov_b32_e32 v148, v9
	v_writelane_b32 v253, s1, 6
	v_cmp_gt_i64_e64 s[0:1], 0, v[148:149]
	buffer_store_dword v0, off, s[96:99], 0 offset:44 ; 4-byte Folded Spill
	v_lshlrev_b32_e32 v0, 2, v4
	buffer_store_dword v0, off, s[96:99], 0 offset:48 ; 4-byte Folded Spill
	v_lshlrev_b32_e32 v150, 28, v1
	s_waitcnt vmcnt(6)
	v_and_b32_e32 v181, 1, v5
	v_lshlrev_b32_e32 v0, 2, v5
	v_lshlrev_b32_e32 v175, 30, v5
	;; [unrolled: 1-line block ×8, first 2 shown]
	v_writelane_b32 v253, s0, 7
	v_not_b32_e32 v5, v149
	v_mov_b32_e32 v149, v9
	buffer_store_dword v0, off, s[96:99], 0 offset:52 ; 4-byte Folded Spill
	v_lshlrev_b32_e32 v0, 2, v6
	v_writelane_b32 v253, s1, 8
	v_cmp_gt_i64_e64 s[0:1], 0, v[149:150]
	buffer_store_dword v0, off, s[96:99], 0 offset:56 ; 4-byte Folded Spill
	v_lshlrev_b32_e32 v0, 2, v7
	v_lshlrev_b32_e32 v151, 27, v1
	v_and_b32_e32 v184, 1, v7
	buffer_store_dword v0, off, s[96:99], 0 offset:60 ; 4-byte Folded Spill
	v_lshlrev_b32_e32 v0, 2, v8
	v_lshlrev_b32_e32 v101, 30, v7
	;; [unrolled: 1-line block ×8, first 2 shown]
	v_writelane_b32 v253, s0, 9
	v_not_b32_e32 v7, v150
	v_mov_b32_e32 v150, v9
	buffer_store_dword v0, off, s[96:99], 0 offset:64 ; 4-byte Folded Spill
	s_waitcnt vmcnt(9)
	v_lshlrev_b32_e32 v0, 2, v13
	v_writelane_b32 v253, s1, 10
	v_cmp_gt_i64_e64 s[0:1], 0, v[150:151]
	buffer_store_dword v0, off, s[96:99], 0 offset:68 ; 4-byte Folded Spill
	v_lshlrev_b32_e32 v0, 2, v14
	v_lshlrev_b32_e32 v152, 26, v1
	buffer_store_dword v0, off, s[96:99], 0 offset:72 ; 4-byte Folded Spill
	v_lshlrev_b32_e32 v0, 2, v15
	v_writelane_b32 v253, s0, 11
	v_not_b32_e32 v10, v151
	v_mov_b32_e32 v151, v9
	buffer_store_dword v0, off, s[96:99], 0 offset:76 ; 4-byte Folded Spill
	v_lshlrev_b32_e32 v0, 2, v16
	v_writelane_b32 v253, s1, 12
	v_cmp_gt_i64_e64 s[0:1], 0, v[151:152]
	buffer_store_dword v0, off, s[96:99], 0 offset:80 ; 4-byte Folded Spill
	s_waitcnt vmcnt(12)
	v_lshlrev_b32_e32 v0, 2, v43
	v_lshlrev_b32_e32 v153, 25, v1
	buffer_store_dword v0, off, s[96:99], 0 offset:84 ; 4-byte Folded Spill
	v_lshlrev_b32_e32 v0, 2, v44
	v_writelane_b32 v253, s0, 13
	v_not_b32_e32 v12, v152
	v_mov_b32_e32 v152, v9
	buffer_store_dword v0, off, s[96:99], 0 offset:88 ; 4-byte Folded Spill
	v_lshlrev_b32_e32 v0, 2, v45
	v_writelane_b32 v253, s1, 14
	v_cmp_gt_i64_e64 s[0:1], 0, v[152:153]
	buffer_store_dword v0, off, s[96:99], 0 offset:92 ; 4-byte Folded Spill
	v_lshlrev_b32_e32 v0, 2, v46
	v_and_b32_e32 v33, 1, v1
	v_lshlrev_b32_e32 v1, 24, v1
	buffer_store_dword v0, off, s[96:99], 0 offset:96 ; 4-byte Folded Spill
	v_writelane_b32 v253, s0, 15
	v_mov_b32_e32 v0, v9
	v_writelane_b32 v253, s1, 16
	v_cmp_gt_i64_e64 s[0:1], 0, v[0:1]
	v_lshlrev_b32_e32 v154, 30, v2
	v_and_b32_e32 v190, 1, v14
	v_lshlrev_b32_e32 v50, 30, v14
	v_lshlrev_b32_e32 v47, 29, v14
	;; [unrolled: 1-line block ×7, first 2 shown]
	v_not_b32_e32 v14, v153
	v_writelane_b32 v253, s0, 17
	v_mov_b32_e32 v153, v9
	v_writelane_b32 v253, s1, 18
	v_cmp_gt_i64_e64 s[0:1], 0, v[153:154]
	v_lshlrev_b32_e32 v155, 29, v2
	v_and_b32_e32 v186, 1, v8
	v_lshlrev_b32_e32 v87, 30, v8
	v_lshlrev_b32_e32 v85, 29, v8
	v_lshlrev_b32_e32 v83, 28, v8
	v_lshlrev_b32_e32 v81, 27, v8
	v_lshlrev_b32_e32 v79, 26, v8
	v_lshlrev_b32_e32 v77, 25, v8
	v_lshlrev_b32_e32 v73, 24, v8
	v_and_b32_e32 v188, 1, v13
	v_and_b32_e32 v192, 1, v15
	;; [unrolled: 1-line block ×3, first 2 shown]
	v_lshlrev_b32_e32 v75, 30, v13
	v_lshlrev_b32_e32 v71, 29, v13
	;; [unrolled: 1-line block ×21, first 2 shown]
	v_writelane_b32 v253, s0, 19
	v_not_b32_e32 v16, v154
	v_mov_b32_e32 v154, v9
	v_writelane_b32 v253, s1, 20
	v_cmp_gt_i64_e64 s[0:1], 0, v[154:155]
	v_lshlrev_b32_e32 v156, 28, v2
	v_writelane_b32 v253, s0, 21
	v_not_b32_e32 v18, v155
	v_mov_b32_e32 v155, v9
	v_writelane_b32 v253, s1, 22
	v_cmp_gt_i64_e64 s[0:1], 0, v[155:156]
	v_lshlrev_b32_e32 v157, 27, v2
	;; [unrolled: 6-line block ×5, first 2 shown]
	v_writelane_b32 v253, s0, 29
	v_not_b32_e32 v26, v159
	v_mov_b32_e32 v159, v9
	v_writelane_b32 v253, s1, 30
	v_cmp_gt_i64_e64 s[0:1], 0, v[159:160]
	v_not_b32_e32 v28, v160
	v_writelane_b32 v253, s0, 31
	v_mov_b32_e32 v160, v9
	v_writelane_b32 v253, s1, 32
	v_cmp_gt_i64_e64 s[0:1], 0, v[160:161]
	v_not_b32_e32 v30, v161
	v_writelane_b32 v253, s0, 33
	;; [unrolled: 5-line block ×6, first 2 shown]
	v_mov_b32_e32 v165, v9
	v_writelane_b32 v253, s1, 42
	v_cmp_gt_i64_e64 s[0:1], 0, v[165:166]
	v_and_b32_e32 v250, 1, v43
	v_and_b32_e32 v218, 1, v45
	;; [unrolled: 1-line block ×3, first 2 shown]
	v_lshlrev_b32_e32 v130, 30, v43
	v_lshlrev_b32_e32 v128, 29, v43
	;; [unrolled: 1-line block ×21, first 2 shown]
	v_writelane_b32 v253, s0, 43
	v_not_b32_e32 v46, v166
	v_mov_b32_e32 v166, v9
	v_writelane_b32 v253, s1, 44
	v_cmp_gt_i64_e64 s[0:1], 0, v[166:167]
	v_lshlrev_b32_e32 v168, 30, v4
	v_writelane_b32 v253, s0, 45
	v_not_b32_e32 v49, v167
	v_mov_b32_e32 v167, v9
	v_writelane_b32 v253, s1, 46
	v_cmp_gt_i64_e64 s[0:1], 0, v[167:168]
	v_lshlrev_b32_e32 v169, 29, v4
	v_writelane_b32 v253, s0, 47
	v_not_b32_e32 v52, v168
	v_mov_b32_e32 v168, v9
	v_writelane_b32 v253, s1, 48
	v_cmp_gt_i64_e64 s[0:1], 0, v[168:169]
	v_lshlrev_b32_e32 v170, 28, v4
	v_writelane_b32 v253, s0, 49
	v_not_b32_e32 v57, v169
	v_mov_b32_e32 v169, v9
	v_writelane_b32 v253, s1, 50
	v_cmp_gt_i64_e64 s[0:1], 0, v[169:170]
	v_lshlrev_b32_e32 v171, 27, v4
	v_writelane_b32 v253, s0, 51
	v_not_b32_e32 v60, v170
	v_mov_b32_e32 v170, v9
	v_writelane_b32 v253, s1, 52
	v_cmp_gt_i64_e64 s[0:1], 0, v[170:171]
	v_lshlrev_b32_e32 v172, 26, v4
	v_writelane_b32 v253, s0, 53
	v_not_b32_e32 v65, v171
	v_mov_b32_e32 v171, v9
	v_writelane_b32 v253, s1, 54
	v_cmp_gt_i64_e64 s[0:1], 0, v[171:172]
	v_lshlrev_b32_e32 v173, 25, v4
	v_writelane_b32 v253, s0, 55
	v_not_b32_e32 v0, v172
	v_mov_b32_e32 v172, v9
	v_writelane_b32 v253, s1, 56
	v_cmp_gt_i64_e64 s[0:1], 0, v[172:173]
	v_lshlrev_b32_e32 v174, 24, v4
	buffer_store_dword v0, off, s[96:99], 0 offset:104 ; 4-byte Folded Spill
	v_writelane_b32 v253, s0, 57
	v_not_b32_e32 v0, v173
	v_mov_b32_e32 v173, v9
	v_writelane_b32 v253, s1, 58
	v_cmp_gt_i64_e64 s[0:1], 0, v[173:174]
	buffer_store_dword v0, off, s[96:99], 0 offset:108 ; 4-byte Folded Spill
	v_writelane_b32 v253, s0, 59
	v_not_b32_e32 v0, v174
	v_mov_b32_e32 v174, v9
	v_writelane_b32 v253, s1, 60
	v_cmp_gt_i64_e64 s[0:1], 0, v[174:175]
	;; [unrolled: 6-line block ×7, first 2 shown]
	v_lshlrev_b32_e32 v144, 30, v6
	v_writelane_b32 v254, s0, 7
	v_writelane_b32 v254, s1, 8
	v_cmp_gt_i64_e64 s[0:1], 0, v[145:146]
	v_lshlrev_b32_e32 v142, 29, v6
	v_writelane_b32 v254, s0, 9
	v_writelane_b32 v254, s1, 10
	v_cmp_gt_i64_e64 s[0:1], 0, v[143:144]
	;; [unrolled: 4-line block ×7, first 2 shown]
	buffer_store_dword v33, off, s[96:99], 0 offset:152 ; 4-byte Folded Spill
	v_writelane_b32 v254, s0, 21
	v_writelane_b32 v254, s1, 22
	v_cmp_gt_i64_e64 s[0:1], 0, v[131:132]
	v_add_co_u32_e32 v33, vcc, -1, v33
	v_writelane_b32 v254, s0, 23
	v_and_b32_e32 v37, 1, v2
	v_writelane_b32 v254, s1, 24
	buffer_store_dword v33, off, s[96:99], 0 ; 4-byte Folded Spill
	v_addc_co_u32_e64 v33, s[0:1], 0, -1, vcc
	buffer_store_dword v33, off, s[96:99], 0 offset:4 ; 4-byte Folded Spill
	v_add_co_u32_e32 v33, vcc, -1, v37
	buffer_store_dword v33, off, s[96:99], 0 offset:8 ; 4-byte Folded Spill
	v_addc_co_u32_e64 v33, s[0:1], 0, -1, vcc
	buffer_store_dword v33, off, s[96:99], 0 offset:12 ; 4-byte Folded Spill
	v_add_co_u32_e32 v33, vcc, -1, v40
	v_and_b32_e32 v34, 1, v4
	buffer_store_dword v33, off, s[96:99], 0 offset:16 ; 4-byte Folded Spill
	v_addc_co_u32_e64 v33, s[0:1], 0, -1, vcc
	buffer_store_dword v33, off, s[96:99], 0 offset:20 ; 4-byte Folded Spill
	v_add_co_u32_e32 v33, vcc, -1, v34
	v_and_b32_e32 v182, 1, v6
	buffer_store_dword v0, off, s[96:99], 0 offset:132 ; 4-byte Folded Spill
	v_not_b32_e32 v0, v180
	buffer_store_dword v33, off, s[96:99], 0 offset:24 ; 4-byte Folded Spill
	v_addc_co_u32_e64 v33, s[0:1], 0, -1, vcc
	v_add_co_u32_e32 v180, vcc, -1, v181
	buffer_store_dword v181, off, s[96:99], 0 offset:168 ; 4-byte Folded Spill
	buffer_store_dword v182, off, s[96:99], 0 offset:172 ; 4-byte Folded Spill
	v_addc_co_u32_e64 v181, s[0:1], 0, -1, vcc
	v_add_co_u32_e32 v182, vcc, -1, v182
	buffer_store_dword v184, off, s[96:99], 0 offset:176 ; 4-byte Folded Spill
	v_addc_co_u32_e64 v183, s[0:1], 0, -1, vcc
	v_add_co_u32_e32 v184, vcc, -1, v184
	;; [unrolled: 3-line block ×6, first 2 shown]
	v_addc_co_u32_e64 v193, s[0:1], 0, -1, vcc
	v_add_co_u32_e32 v194, vcc, -1, v216
	v_and_b32_e32 v217, 1, v44
	v_addc_co_u32_e64 v195, s[0:1], 0, -1, vcc
	v_add_co_u32_e32 v196, vcc, -1, v250
	v_addc_co_u32_e64 v197, s[0:1], 0, -1, vcc
	v_add_co_u32_e32 v198, vcc, -1, v217
	;; [unrolled: 2-line block ×3, first 2 shown]
	buffer_store_dword v0, off, s[96:99], 0 offset:140 ; 4-byte Folded Spill
	v_not_b32_e32 v0, v146
	v_addc_co_u32_e64 v201, s[0:1], 0, -1, vcc
	v_add_co_u32_e32 v202, vcc, -1, v203
	buffer_store_dword v0, off, s[96:99], 0 offset:136 ; 4-byte Folded Spill
	v_not_b32_e32 v0, v144
	v_mov_b32_e32 v144, v203
	v_addc_co_u32_e64 v203, s[0:1], 0, -1, vcc
	v_cmp_gt_i64_e64 s[0:1], 0, v[100:101]
	v_ashrrev_i32_e32 v149, 31, v65
	v_writelane_b32 v254, s0, 25
	v_writelane_b32 v254, s1, 26
	v_cmp_gt_i64_e64 s[0:1], 0, v[98:99]
	v_mov_b32_e32 v65, v9
	v_writelane_b32 v254, s0, 27
	v_writelane_b32 v254, s1, 28
	v_cmp_gt_i64_e64 s[0:1], 0, v[96:97]
	v_ashrrev_i32_e32 v148, 31, v60
	v_writelane_b32 v254, s0, 29
	v_writelane_b32 v254, s1, 30
	v_cmp_gt_i64_e64 s[0:1], 0, v[94:95]
	v_mov_b32_e32 v60, v9
	v_writelane_b32 v254, s0, 31
	v_writelane_b32 v254, s1, 32
	;; [unrolled: 8-line block ×3, first 2 shown]
	v_cmp_gt_i64_e64 s[0:1], 0, v[88:89]
	buffer_store_dword v0, off, s[96:99], 0 offset:144 ; 4-byte Folded Spill
	v_writelane_b32 v254, s0, 37
	v_writelane_b32 v254, s1, 38
	v_cmp_gt_i64_e64 s[0:1], 0, v[86:87]
	v_not_b32_e32 v0, v140
	v_writelane_b32 v254, s0, 39
	v_writelane_b32 v254, s1, 40
	v_cmp_gt_i64_e64 s[0:1], 0, v[84:85]
	v_ashrrev_i32_e32 v140, 31, v52
	v_writelane_b32 v254, s0, 41
	v_writelane_b32 v254, s1, 42
	v_cmp_gt_i64_e64 s[0:1], 0, v[82:83]
	v_mov_b32_e32 v52, v9
	v_writelane_b32 v254, s0, 43
	v_writelane_b32 v254, s1, 44
	v_cmp_gt_i64_e64 s[0:1], 0, v[80:81]
	v_ashrrev_i32_e32 v139, 31, v49
	v_writelane_b32 v254, s0, 45
	v_writelane_b32 v254, s1, 46
	v_cmp_gt_i64_e64 s[0:1], 0, v[78:79]
	v_mov_b32_e32 v49, v9
	v_writelane_b32 v254, s0, 47
	v_writelane_b32 v254, s1, 48
	v_cmp_gt_i64_e64 s[0:1], 0, v[76:77]
	v_not_b32_e32 v152, v138
	v_writelane_b32 v254, s0, 49
	v_writelane_b32 v254, s1, 50
	v_cmp_gt_i64_e64 s[0:1], 0, v[72:73]
	v_ashrrev_i32_e32 v138, 31, v46
	v_writelane_b32 v254, s0, 51
	v_writelane_b32 v254, s1, 52
	v_cmp_gt_i64_e64 s[0:1], 0, v[74:75]
	v_mov_b32_e32 v46, v9
	v_writelane_b32 v254, s0, 53
	v_writelane_b32 v254, s1, 54
	v_cmp_gt_i64_e64 s[0:1], 0, v[70:71]
	v_ashrrev_i32_e32 v137, 31, v41
	v_writelane_b32 v254, s0, 55
	v_writelane_b32 v254, s1, 56
	v_cmp_gt_i64_e64 s[0:1], 0, v[68:69]
	v_mov_b32_e32 v41, v9
	;; [unrolled: 8-line block ×8, first 2 shown]
	v_writelane_b32 v255, s0, 17
	v_writelane_b32 v255, s1, 18
	v_cmp_gt_i64_e64 s[0:1], 0, v[209:210]
	buffer_store_dword v0, off, s[96:99], 0 offset:148 ; 4-byte Folded Spill
	v_writelane_b32 v255, s0, 19
	v_writelane_b32 v255, s1, 20
	v_cmp_gt_i64_e64 s[0:1], 0, v[24:25]
	v_ashrrev_i32_e32 v207, 31, v5
	v_writelane_b32 v255, s0, 21
	v_writelane_b32 v255, s1, 22
	v_cmp_gt_i64_e64 s[0:1], 0, v[22:23]
	v_ashrrev_i32_e32 v0, 31, v12
	v_ashrrev_i32_e32 v5, 31, v20
	v_mov_b32_e32 v20, v9
	buffer_load_dword v143, off, s[96:99], 0 offset:100 ; 4-byte Folded Reload
	v_writelane_b32 v255, s0, 23
	v_writelane_b32 v255, s1, 24
	v_cmp_gt_i64_e64 s[0:1], 0, v[20:21]
	v_mov_b32_e32 v165, v0
	v_mov_b32_e32 v20, v0
	buffer_load_dword v0, off, s[96:99], 0 offset:104 ; 4-byte Folded Reload
	v_not_b32_e32 v141, v93
	v_ashrrev_i32_e32 v96, 31, v141
	buffer_load_dword v141, off, s[96:99], 0 offset:152 ; 4-byte Folded Reload
	v_not_b32_e32 v234, v29
	buffer_store_dword v37, off, s[96:99], 0 offset:156 ; 4-byte Folded Spill
	buffer_store_dword v40, off, s[96:99], 0 offset:160 ; 4-byte Folded Spill
	;; [unrolled: 1-line block ×3, first 2 shown]
	v_ashrrev_i32_e32 v4, 31, v18
	v_mov_b32_e32 v18, v9
	v_writelane_b32 v255, s0, 25
	v_writelane_b32 v255, s1, 26
	v_cmp_gt_i64_e64 s[0:1], 0, v[18:19]
	v_ashrrev_i32_e32 v146, 31, v3
	v_ashrrev_i32_e32 v3, 31, v16
	v_mov_b32_e32 v16, v9
	v_writelane_b32 v255, s0, 27
	v_writelane_b32 v255, s1, 28
	v_cmp_gt_i64_e64 s[0:1], 0, v[16:17]
	v_ashrrev_i32_e32 v2, 31, v14
	v_mov_b32_e32 v14, v9
	v_writelane_b32 v255, s0, 29
	v_writelane_b32 v255, s1, 30
	v_cmp_gt_i64_e64 s[0:1], 0, v[14:15]
	v_mov_b32_e32 v12, v9
	v_writelane_b32 v255, s0, 31
	v_writelane_b32 v255, s1, 32
	v_cmp_gt_i64_e64 s[0:1], 0, v[12:13]
	v_ashrrev_i32_e32 v214, 31, v10
	v_mov_b32_e32 v10, v9
	v_writelane_b32 v255, s0, 33
	v_writelane_b32 v255, s1, 34
	v_cmp_gt_i64_e64 s[0:1], 0, v[10:11]
	v_ashrrev_i32_e32 v212, 31, v7
	v_mov_b32_e32 v7, v9
	v_writelane_b32 v255, s0, 35
	v_writelane_b32 v255, s1, 36
	v_cmp_gt_i64_e64 s[0:1], 0, v[7:8]
	v_not_b32_e32 v223, v66
	v_mov_b32_e32 v65, v245
	v_mov_b32_e32 v66, v246
	v_writelane_b32 v255, s0, 37
	v_writelane_b32 v255, s1, 38
	v_cmp_gt_i64_e64 s[0:1], 0, v[65:66]
	v_not_b32_e32 v224, v61
	v_mov_b32_e32 v60, v251
	v_mov_b32_e32 v61, v252
	v_writelane_b32 v255, s0, 39
	v_writelane_b32 v255, s1, 40
	v_cmp_gt_i64_e64 s[0:1], 0, v[60:61]
	v_not_b32_e32 v219, v73
	v_lshlrev_b32_e32 v116, 30, v44
	v_lshlrev_b32_e32 v114, 29, v44
	;; [unrolled: 1-line block ×4, first 2 shown]
	v_not_b32_e32 v225, v58
	v_mov_b32_e32 v57, v247
	v_lshlrev_b32_e32 v112, 28, v44
	v_lshlrev_b32_e32 v110, 27, v44
	;; [unrolled: 1-line block ×3, first 2 shown]
	v_not_b32_e32 v1, v1
	v_not_b32_e32 v153, v142
	v_ashrrev_i32_e32 v26, 31, v26
	v_not_b32_e32 v155, v132
	v_not_b32_e32 v151, v99
	;; [unrolled: 1-line block ×8, first 2 shown]
	v_mov_b32_e32 v58, v248
	v_not_b32_e32 v53, v128
	v_not_b32_e32 v50, v124
	s_waitcnt vmcnt(5)
	v_lshlrev_b32_e32 v28, 2, v143
	buffer_store_dword v28, off, s[96:99], 0 offset:32 ; 4-byte Folded Spill
	v_not_b32_e32 v47, v120
	v_not_b32_e32 v42, v116
	;; [unrolled: 1-line block ×3, first 2 shown]
	v_mov_b32_e32 v145, v146
	s_waitcnt vmcnt(5)
	v_ashrrev_i32_e32 v28, 31, v0
	buffer_load_dword v0, off, s[96:99], 0 offset:108 ; 4-byte Folded Reload
	v_mov_b32_e32 v24, v146
	s_waitcnt vmcnt(5)
	v_cmp_eq_u32_e64 s[36:37], 1, v141
	buffer_load_dword v141, off, s[96:99], 0 offset:156 ; 4-byte Folded Reload
	v_mov_b32_e32 v146, v207
	v_mov_b32_e32 v25, v207
	;; [unrolled: 1-line block ×6, first 2 shown]
	v_not_b32_e32 v207, v108
	v_not_b32_e32 v55, v104
	;; [unrolled: 1-line block ×3, first 2 shown]
	v_ashrrev_i32_e32 v1, 31, v1
	v_not_b32_e32 v157, v136
	v_not_b32_e32 v154, v134
	;; [unrolled: 1-line block ×4, first 2 shown]
	buffer_store_dword v33, off, s[96:99], 0 offset:28 ; 4-byte Folded Spill
	v_not_b32_e32 v100, v95
	v_not_b32_e32 v98, v91
	;; [unrolled: 1-line block ×42, first 2 shown]
	v_mov_b32_e32 v164, v214
	v_mov_b32_e32 v23, v214
	;; [unrolled: 1-line block ×19, first 2 shown]
	s_waitcnt vmcnt(2)
	v_ashrrev_i32_e32 v29, 31, v0
	buffer_load_dword v0, off, s[96:99], 0 offset:116 ; 4-byte Folded Reload
	v_mov_b32_e32 v5, v137
	s_waitcnt vmcnt(2)
	v_cmp_eq_u32_e64 s[38:39], 1, v141
	buffer_load_dword v141, off, s[96:99], 0 offset:160 ; 4-byte Folded Reload
	v_mov_b32_e32 v133, v138
	v_mov_b32_e32 v6, v138
	v_writelane_b32 v255, s0, 41
	v_mov_b32_e32 v134, v139
	v_mov_b32_e32 v3, v139
	v_cmp_gt_i64_e64 s[72:73], 0, v[57:58]
	v_mov_b32_e32 v178, v148
	v_mov_b32_e32 v2, v148
	;; [unrolled: 1-line block ×3, first 2 shown]
	v_not_b32_e32 v210, v106
	v_mov_b32_e32 v103, v9
	v_mov_b32_e32 v101, v9
	v_not_b32_e32 v26, v102
	v_ashrrev_i32_e32 v74, 31, v153
	v_mov_b32_e32 v66, v9
	v_cmp_gt_i64_e64 s[90:91], 0, v[113:114]
	v_mov_b32_e32 v63, v9
	v_cmp_gt_i64_e64 s[92:93], 0, v[111:112]
	v_cmp_gt_i64_e64 s[94:95], 0, v[109:110]
	v_not_b32_e32 v137, v64
	v_ashrrev_i32_e32 v85, 31, v155
	v_mov_b32_e32 v61, v9
	v_not_b32_e32 v139, v62
	v_ashrrev_i32_e32 v90, 31, v151
	v_mov_b32_e32 v58, v9
	v_not_b32_e32 v138, v59
	v_ashrrev_i32_e32 v109, 31, v223
	v_ashrrev_i32_e32 v111, 31, v225
	v_ashrrev_i32_e32 v113, 31, v227
	v_ashrrev_i32_e32 v223, 31, v53
	v_ashrrev_i32_e32 v225, 31, v50
	v_ashrrev_i32_e32 v227, 31, v47
	v_ashrrev_i32_e32 v148, 31, v44
	v_ashrrev_i32_e32 v151, 31, v207
	v_ashrrev_i32_e32 v153, 31, v55
	v_ashrrev_i32_e32 v155, 31, v212
	v_mov_b32_e32 v55, v9
	v_mov_b32_e32 v53, v9
	;; [unrolled: 1-line block ×8, first 2 shown]
	v_ashrrev_i32_e32 v32, 31, v32
	v_mov_b32_e32 v167, v1
	v_mov_b32_e32 v18, v1
	;; [unrolled: 1-line block ×6, first 2 shown]
	v_writelane_b32 v255, s1, 42
	v_mov_b32_e32 v135, v140
	v_mov_b32_e32 v4, v140
	;; [unrolled: 1-line block ×4, first 2 shown]
	v_cmp_gt_i64_e64 s[74:75], 0, v[129:130]
	v_mov_b32_e32 v179, v149
	v_mov_b32_e32 v27, v149
	v_cmp_gt_i64_e64 s[76:77], 0, v[127:128]
	v_cmp_gt_i64_e64 s[78:79], 0, v[125:126]
	;; [unrolled: 1-line block ×7, first 2 shown]
	v_ashrrev_i32_e32 v79, 31, v152
	v_ashrrev_i32_e32 v80, 31, v157
	v_ashrrev_i32_e32 v84, 31, v154
	v_ashrrev_i32_e32 v86, 31, v156
	v_cmp_gt_i64_e64 s[0:1], 0, v[107:108]
	v_cmp_gt_i64_e64 s[2:3], 0, v[105:106]
	v_ashrrev_i32_e32 v91, 31, v150
	v_ashrrev_i32_e32 v92, 31, v100
	v_cmp_gt_i64_e64 s[4:5], 0, v[103:104]
	v_cmp_gt_i64_e64 s[68:69], 0, v[101:102]
	s_waitcnt vmcnt(1)
	v_ashrrev_i32_e32 v30, 31, v0
	buffer_load_dword v0, off, s[96:99], 0 offset:112 ; 4-byte Folded Reload
	v_ashrrev_i32_e32 v97, 31, v98
	s_waitcnt vmcnt(1)
	v_cmp_eq_u32_e64 s[40:41], 1, v141
	buffer_load_dword v141, off, s[96:99], 0 offset:164 ; 4-byte Folded Reload
	v_ashrrev_i32_e32 v98, 31, v99
	v_ashrrev_i32_e32 v99, 31, v142
	;; [unrolled: 1-line block ×53, first 2 shown]
	v_cmp_gt_i64_e64 s[8:9], 0, v[66:67]
	v_cmp_gt_i64_e64 s[10:11], 0, v[63:64]
	;; [unrolled: 1-line block ×12, first 2 shown]
	v_mov_b32_e32 v176, v32
	v_mov_b32_e32 v11, v32
	;; [unrolled: 1-line block ×11, first 2 shown]
	s_waitcnt vmcnt(1)
	v_ashrrev_i32_e32 v38, 31, v0
	buffer_load_dword v0, off, s[96:99], 0 offset:120 ; 4-byte Folded Reload
	v_mov_b32_e32 v49, v38
	s_waitcnt vmcnt(1)
	v_cmp_eq_u32_e64 s[42:43], 1, v141
	buffer_load_dword v141, off, s[96:99], 0 offset:168 ; 4-byte Folded Reload
	v_mov_b32_e32 v93, v90
	v_mov_b32_e32 v94, v91
	;; [unrolled: 1-line block ×38, first 2 shown]
	v_cmp_eq_u32_e64 s[58:59], 1, v216
	v_mov_b32_e32 v213, v221
	v_cmp_eq_u32_e64 s[60:61], 1, v250
	v_mov_b32_e32 v216, v222
	;; [unrolled: 2-line block ×5, first 2 shown]
	v_mov_b32_e32 v251, v226
	v_mov_b32_e32 v252, v227
	;; [unrolled: 1-line block ×23, first 2 shown]
	s_waitcnt vmcnt(1)
	v_ashrrev_i32_e32 v41, 31, v0
	buffer_load_dword v0, off, s[96:99], 0 offset:128 ; 4-byte Folded Reload
	v_mov_b32_e32 v52, v41
	s_waitcnt vmcnt(1)
	v_cmp_eq_u32_e64 s[44:45], 1, v141
	buffer_load_dword v141, off, s[96:99], 0 offset:172 ; 4-byte Folded Reload
	s_waitcnt vmcnt(1)
	v_ashrrev_i32_e32 v46, 31, v0
	buffer_load_dword v0, off, s[96:99], 0 offset:124 ; 4-byte Folded Reload
	v_mov_b32_e32 v57, v46
	s_waitcnt vmcnt(1)
	v_cmp_eq_u32_e64 s[46:47], 1, v141
	buffer_load_dword v141, off, s[96:99], 0 offset:176 ; 4-byte Folded Reload
	;; [unrolled: 7-line block ×6, first 2 shown]
	s_waitcnt vmcnt(1)
	v_ashrrev_i32_e32 v73, 31, v0
	buffer_load_dword v0, off, s[96:99], 0 offset:148 ; 4-byte Folded Reload
	v_mov_b32_e32 v76, v73
	s_waitcnt vmcnt(1)
	v_cmp_eq_u32_e64 s[56:57], 1, v141
	v_mov_b32_e32 v141, v143
	v_cmp_gt_u32_e64 s[70:71], s6, v141
	s_waitcnt vmcnt(0)
	v_ashrrev_i32_e32 v78, 31, v0
	v_ashrrev_i32_e32 v0, 31, v42
	v_mov_b32_e32 v42, v9
	v_cmp_gt_i64_e64 s[26:27], 0, v[42:43]
	v_mov_b32_e32 v81, v78
	v_mov_b32_e32 v42, v114
	;; [unrolled: 1-line block ×4, first 2 shown]
	s_branch .LBB5_2
.LBB5_1:                                ;   in Loop: Header=BB5_2 Depth=1
	s_or_b64 exec, exec, s[6:7]
	s_add_i32 s33, s33, -1
	s_cmp_eq_u32 s33, 0
	s_waitcnt lgkmcnt(0)
	s_barrier
	s_cbranch_scc1 .LBB5_36
.LBB5_2:                                ; =>This Inner Loop Header: Depth=1
	s_and_saveexec_b64 s[6:7], s[70:71]
	s_cbranch_execz .LBB5_4
; %bb.3:                                ;   in Loop: Header=BB5_2 Depth=1
	buffer_load_dword v141, off, s[96:99], 0 offset:32 ; 4-byte Folded Reload
	s_waitcnt vmcnt(0)
	ds_write_b32 v141, v9
.LBB5_4:                                ;   in Loop: Header=BB5_2 Depth=1
	s_or_b64 exec, exec, s[6:7]
	v_cndmask_b32_e64 v141, 0, 1, s[36:37]
	s_waitcnt lgkmcnt(0)
	s_barrier
	v_cmp_ne_u32_e32 vcc, 0, v141
	buffer_load_dword v141, off, s[96:99], 0 offset:4 ; 4-byte Folded Reload
	buffer_load_dword v142, off, s[96:99], 0 ; 4-byte Folded Reload
	v_readlane_b32 s6, v253, 5
	v_readlane_b32 s7, v253, 6
	v_cndmask_b32_e64 v143, 0, 1, s[6:7]
	v_readlane_b32 s6, v253, 7
	v_readlane_b32 s7, v253, 8
	s_waitcnt vmcnt(1)
	v_xor_b32_e32 v141, vcc_hi, v141
	s_waitcnt vmcnt(0)
	v_xor_b32_e32 v142, vcc_lo, v142
	v_cmp_ne_u32_e32 vcc, 0, v143
	v_and_b32_e32 v141, exec_hi, v141
	v_xor_b32_e32 v143, vcc_hi, v24
	v_and_b32_e32 v141, v141, v143
	v_cndmask_b32_e64 v143, 0, 1, s[6:7]
	v_xor_b32_e32 v144, vcc_lo, v145
	v_cmp_ne_u32_e32 vcc, 0, v143
	v_readlane_b32 s6, v253, 9
	v_xor_b32_e32 v143, vcc_hi, v25
	v_readlane_b32 s7, v253, 10
	v_and_b32_e32 v142, exec_lo, v142
	v_and_b32_e32 v141, v141, v143
	v_cndmask_b32_e64 v143, 0, 1, s[6:7]
	v_and_b32_e32 v142, v142, v144
	v_xor_b32_e32 v144, vcc_lo, v146
	v_cmp_ne_u32_e32 vcc, 0, v143
	v_readlane_b32 s6, v253, 11
	v_xor_b32_e32 v143, vcc_hi, v22
	v_readlane_b32 s7, v253, 12
	v_and_b32_e32 v141, v141, v143
	v_cndmask_b32_e64 v143, 0, 1, s[6:7]
	v_and_b32_e32 v142, v142, v144
	v_xor_b32_e32 v144, vcc_lo, v163
	v_cmp_ne_u32_e32 vcc, 0, v143
	v_readlane_b32 s6, v253, 13
	v_xor_b32_e32 v143, vcc_hi, v23
	v_readlane_b32 s7, v253, 14
	;; [unrolled: 8-line block ×4, first 2 shown]
	v_and_b32_e32 v141, v141, v143
	v_cndmask_b32_e64 v143, 0, 1, s[6:7]
	v_and_b32_e32 v142, v142, v144
	v_xor_b32_e32 v144, vcc_lo, v166
	v_cmp_ne_u32_e32 vcc, 0, v143
	v_and_b32_e32 v142, v142, v144
	v_xor_b32_e32 v144, vcc_lo, v167
	v_xor_b32_e32 v143, vcc_hi, v18
	v_and_b32_e32 v142, v142, v144
	v_and_b32_e32 v141, v141, v143
	v_mbcnt_lo_u32_b32 v143, v142, 0
	v_mbcnt_hi_u32_b32 v143, v141, v143
	v_cmp_eq_u32_e32 vcc, 0, v143
	s_and_saveexec_b64 s[6:7], vcc
	s_cbranch_execz .LBB5_6
; %bb.5:                                ;   in Loop: Header=BB5_2 Depth=1
	v_bcnt_u32_b32 v142, v142, 0
	v_bcnt_u32_b32 v141, v141, v142
	buffer_load_dword v142, off, s[96:99], 0 offset:36 ; 4-byte Folded Reload
	s_waitcnt vmcnt(0)
	ds_add_u32 v142, v141
.LBB5_6:                                ;   in Loop: Header=BB5_2 Depth=1
	s_or_b64 exec, exec, s[6:7]
	v_cndmask_b32_e64 v141, 0, 1, s[38:39]
	v_cmp_ne_u32_e32 vcc, 0, v141
	buffer_load_dword v141, off, s[96:99], 0 offset:12 ; 4-byte Folded Reload
	buffer_load_dword v142, off, s[96:99], 0 offset:8 ; 4-byte Folded Reload
	v_readlane_b32 s6, v253, 19
	v_readlane_b32 s7, v253, 20
	v_cndmask_b32_e64 v143, 0, 1, s[6:7]
	v_readlane_b32 s6, v253, 21
	v_readlane_b32 s7, v253, 22
	s_waitcnt vmcnt(1)
	v_xor_b32_e32 v141, vcc_hi, v141
	s_waitcnt vmcnt(0)
	v_xor_b32_e32 v142, vcc_lo, v142
	v_cmp_ne_u32_e32 vcc, 0, v143
	v_and_b32_e32 v141, exec_hi, v141
	v_xor_b32_e32 v143, vcc_hi, v19
	v_and_b32_e32 v141, v141, v143
	v_cndmask_b32_e64 v143, 0, 1, s[6:7]
	v_xor_b32_e32 v144, vcc_lo, v168
	v_cmp_ne_u32_e32 vcc, 0, v143
	v_readlane_b32 s6, v253, 23
	v_xor_b32_e32 v143, vcc_hi, v16
	v_readlane_b32 s7, v253, 24
	v_and_b32_e32 v142, exec_lo, v142
	v_and_b32_e32 v141, v141, v143
	v_cndmask_b32_e64 v143, 0, 1, s[6:7]
	v_and_b32_e32 v142, v142, v144
	v_xor_b32_e32 v144, vcc_lo, v169
	v_cmp_ne_u32_e32 vcc, 0, v143
	v_readlane_b32 s6, v253, 25
	v_xor_b32_e32 v143, vcc_hi, v17
	v_readlane_b32 s7, v253, 26
	v_and_b32_e32 v141, v141, v143
	v_cndmask_b32_e64 v143, 0, 1, s[6:7]
	v_and_b32_e32 v142, v142, v144
	v_xor_b32_e32 v144, vcc_lo, v170
	v_cmp_ne_u32_e32 vcc, 0, v143
	v_readlane_b32 s6, v253, 27
	v_xor_b32_e32 v143, vcc_hi, v14
	v_readlane_b32 s7, v253, 28
	;; [unrolled: 8-line block ×4, first 2 shown]
	v_and_b32_e32 v141, v141, v143
	v_cndmask_b32_e64 v143, 0, 1, s[6:7]
	v_and_b32_e32 v142, v142, v144
	v_xor_b32_e32 v144, vcc_lo, v173
	v_cmp_ne_u32_e32 vcc, 0, v143
	v_and_b32_e32 v142, v142, v144
	v_xor_b32_e32 v144, vcc_lo, v174
	v_xor_b32_e32 v143, vcc_hi, v13
	v_and_b32_e32 v142, v142, v144
	v_and_b32_e32 v141, v141, v143
	v_mbcnt_lo_u32_b32 v143, v142, 0
	v_mbcnt_hi_u32_b32 v143, v141, v143
	v_cmp_eq_u32_e32 vcc, 0, v143
	s_and_saveexec_b64 s[6:7], vcc
	s_cbranch_execz .LBB5_8
; %bb.7:                                ;   in Loop: Header=BB5_2 Depth=1
	v_bcnt_u32_b32 v142, v142, 0
	v_bcnt_u32_b32 v141, v141, v142
	buffer_load_dword v142, off, s[96:99], 0 offset:40 ; 4-byte Folded Reload
	s_waitcnt vmcnt(0)
	ds_add_u32 v142, v141
.LBB5_8:                                ;   in Loop: Header=BB5_2 Depth=1
	s_or_b64 exec, exec, s[6:7]
	v_cndmask_b32_e64 v141, 0, 1, s[40:41]
	v_cmp_ne_u32_e32 vcc, 0, v141
	buffer_load_dword v141, off, s[96:99], 0 offset:20 ; 4-byte Folded Reload
	buffer_load_dword v142, off, s[96:99], 0 offset:16 ; 4-byte Folded Reload
	v_readlane_b32 s6, v253, 33
	v_readlane_b32 s7, v253, 34
	v_cndmask_b32_e64 v143, 0, 1, s[6:7]
	v_readlane_b32 s6, v253, 35
	v_readlane_b32 s7, v253, 36
	s_waitcnt vmcnt(1)
	v_xor_b32_e32 v141, vcc_hi, v141
	s_waitcnt vmcnt(0)
	v_xor_b32_e32 v142, vcc_lo, v142
	v_cmp_ne_u32_e32 vcc, 0, v143
	v_and_b32_e32 v141, exec_hi, v141
	v_xor_b32_e32 v143, vcc_hi, v10
	v_and_b32_e32 v141, v141, v143
	v_cndmask_b32_e64 v143, 0, 1, s[6:7]
	v_xor_b32_e32 v144, vcc_lo, v175
	v_cmp_ne_u32_e32 vcc, 0, v143
	v_readlane_b32 s6, v253, 37
	v_xor_b32_e32 v143, vcc_hi, v11
	v_readlane_b32 s7, v253, 38
	v_and_b32_e32 v142, exec_lo, v142
	v_and_b32_e32 v141, v141, v143
	v_cndmask_b32_e64 v143, 0, 1, s[6:7]
	v_and_b32_e32 v142, v142, v144
	v_xor_b32_e32 v144, vcc_lo, v176
	v_cmp_ne_u32_e32 vcc, 0, v143
	v_readlane_b32 s6, v253, 39
	v_xor_b32_e32 v143, vcc_hi, v7
	v_readlane_b32 s7, v253, 40
	v_and_b32_e32 v141, v141, v143
	v_cndmask_b32_e64 v143, 0, 1, s[6:7]
	v_and_b32_e32 v142, v142, v144
	v_xor_b32_e32 v144, vcc_lo, v177
	v_cmp_ne_u32_e32 vcc, 0, v143
	v_readlane_b32 s6, v253, 41
	v_xor_b32_e32 v143, vcc_hi, v8
	v_readlane_b32 s7, v253, 42
	;; [unrolled: 8-line block ×4, first 2 shown]
	v_and_b32_e32 v141, v141, v143
	v_cndmask_b32_e64 v143, 0, 1, s[6:7]
	v_and_b32_e32 v142, v142, v144
	v_xor_b32_e32 v144, vcc_lo, v133
	v_cmp_ne_u32_e32 vcc, 0, v143
	v_and_b32_e32 v142, v142, v144
	v_xor_b32_e32 v144, vcc_lo, v134
	v_xor_b32_e32 v143, vcc_hi, v3
	v_and_b32_e32 v142, v142, v144
	v_and_b32_e32 v141, v141, v143
	v_mbcnt_lo_u32_b32 v143, v142, 0
	v_mbcnt_hi_u32_b32 v143, v141, v143
	v_cmp_eq_u32_e32 vcc, 0, v143
	s_and_saveexec_b64 s[6:7], vcc
	s_cbranch_execz .LBB5_10
; %bb.9:                                ;   in Loop: Header=BB5_2 Depth=1
	v_bcnt_u32_b32 v142, v142, 0
	v_bcnt_u32_b32 v141, v141, v142
	buffer_load_dword v142, off, s[96:99], 0 offset:44 ; 4-byte Folded Reload
	s_waitcnt vmcnt(0)
	ds_add_u32 v142, v141
.LBB5_10:                               ;   in Loop: Header=BB5_2 Depth=1
	s_or_b64 exec, exec, s[6:7]
	v_cndmask_b32_e64 v141, 0, 1, s[42:43]
	v_cmp_ne_u32_e32 vcc, 0, v141
	buffer_load_dword v141, off, s[96:99], 0 offset:28 ; 4-byte Folded Reload
	buffer_load_dword v142, off, s[96:99], 0 offset:24 ; 4-byte Folded Reload
	v_readlane_b32 s6, v253, 47
	v_readlane_b32 s7, v253, 48
	v_cndmask_b32_e64 v143, 0, 1, s[6:7]
	v_readlane_b32 s6, v253, 49
	v_readlane_b32 s7, v253, 50
	s_waitcnt vmcnt(1)
	v_xor_b32_e32 v141, vcc_hi, v141
	s_waitcnt vmcnt(0)
	v_xor_b32_e32 v142, vcc_lo, v142
	v_cmp_ne_u32_e32 vcc, 0, v143
	v_and_b32_e32 v141, exec_hi, v141
	v_xor_b32_e32 v143, vcc_hi, v4
	v_and_b32_e32 v141, v141, v143
	v_cndmask_b32_e64 v143, 0, 1, s[6:7]
	v_xor_b32_e32 v144, vcc_lo, v135
	v_cmp_ne_u32_e32 vcc, 0, v143
	v_readlane_b32 s6, v253, 51
	v_xor_b32_e32 v143, vcc_hi, v1
	v_readlane_b32 s7, v253, 52
	v_and_b32_e32 v142, exec_lo, v142
	v_and_b32_e32 v141, v141, v143
	v_cndmask_b32_e64 v143, 0, 1, s[6:7]
	v_and_b32_e32 v142, v142, v144
	v_xor_b32_e32 v144, vcc_lo, v136
	v_cmp_ne_u32_e32 vcc, 0, v143
	v_readlane_b32 s6, v253, 53
	v_xor_b32_e32 v143, vcc_hi, v2
	v_readlane_b32 s7, v253, 54
	v_and_b32_e32 v141, v141, v143
	v_cndmask_b32_e64 v143, 0, 1, s[6:7]
	v_and_b32_e32 v142, v142, v144
	v_xor_b32_e32 v144, vcc_lo, v178
	v_cmp_ne_u32_e32 vcc, 0, v143
	v_readlane_b32 s6, v253, 55
	v_xor_b32_e32 v143, vcc_hi, v27
	v_readlane_b32 s7, v253, 56
	v_and_b32_e32 v141, v141, v143
	v_cndmask_b32_e64 v143, 0, 1, s[6:7]
	v_and_b32_e32 v142, v142, v144
	v_xor_b32_e32 v144, vcc_lo, v179
	v_cmp_ne_u32_e32 vcc, 0, v143
	v_readlane_b32 s6, v253, 57
	v_xor_b32_e32 v143, vcc_hi, v31
	v_readlane_b32 s7, v253, 58
	v_and_b32_e32 v141, v141, v143
	v_cndmask_b32_e64 v143, 0, 1, s[6:7]
	v_and_b32_e32 v142, v142, v144
	v_xor_b32_e32 v144, vcc_lo, v28
	v_cmp_ne_u32_e32 vcc, 0, v143
	v_readlane_b32 s6, v253, 59
	v_xor_b32_e32 v143, vcc_hi, v32
	v_readlane_b32 s7, v253, 60
	v_and_b32_e32 v141, v141, v143
	v_cndmask_b32_e64 v143, 0, 1, s[6:7]
	v_and_b32_e32 v142, v142, v144
	v_xor_b32_e32 v144, vcc_lo, v29
	v_cmp_ne_u32_e32 vcc, 0, v143
	v_and_b32_e32 v142, v142, v144
	v_xor_b32_e32 v144, vcc_lo, v30
	v_xor_b32_e32 v143, vcc_hi, v35
	v_and_b32_e32 v142, v142, v144
	v_and_b32_e32 v141, v141, v143
	v_mbcnt_lo_u32_b32 v143, v142, 0
	v_mbcnt_hi_u32_b32 v143, v141, v143
	v_cmp_eq_u32_e32 vcc, 0, v143
	s_and_saveexec_b64 s[6:7], vcc
	s_cbranch_execz .LBB5_12
; %bb.11:                               ;   in Loop: Header=BB5_2 Depth=1
	v_bcnt_u32_b32 v142, v142, 0
	v_bcnt_u32_b32 v141, v141, v142
	buffer_load_dword v142, off, s[96:99], 0 offset:48 ; 4-byte Folded Reload
	s_waitcnt vmcnt(0)
	ds_add_u32 v142, v141
.LBB5_12:                               ;   in Loop: Header=BB5_2 Depth=1
	s_or_b64 exec, exec, s[6:7]
	v_readlane_b32 s6, v253, 61
	v_cndmask_b32_e64 v141, 0, 1, s[44:45]
	v_readlane_b32 s7, v253, 62
	v_cmp_ne_u32_e32 vcc, 0, v141
	v_cndmask_b32_e64 v143, 0, 1, s[6:7]
	v_xor_b32_e32 v141, vcc_hi, v181
	v_xor_b32_e32 v142, vcc_lo, v180
	v_cmp_ne_u32_e32 vcc, 0, v143
	v_readlane_b32 s6, v253, 63
	v_and_b32_e32 v141, exec_hi, v141
	v_xor_b32_e32 v143, vcc_hi, v49
	v_readlane_b32 s7, v254, 0
	v_and_b32_e32 v141, v141, v143
	v_cndmask_b32_e64 v143, 0, 1, s[6:7]
	v_xor_b32_e32 v144, vcc_lo, v38
	v_cmp_ne_u32_e32 vcc, 0, v143
	v_readlane_b32 s6, v254, 1
	v_xor_b32_e32 v143, vcc_hi, v52
	v_readlane_b32 s7, v254, 2
	v_and_b32_e32 v142, exec_lo, v142
	v_and_b32_e32 v141, v141, v143
	v_cndmask_b32_e64 v143, 0, 1, s[6:7]
	v_and_b32_e32 v142, v142, v144
	v_xor_b32_e32 v144, vcc_lo, v41
	v_cmp_ne_u32_e32 vcc, 0, v143
	v_readlane_b32 s6, v254, 3
	v_xor_b32_e32 v143, vcc_hi, v57
	v_readlane_b32 s7, v254, 4
	v_and_b32_e32 v141, v141, v143
	v_cndmask_b32_e64 v143, 0, 1, s[6:7]
	v_and_b32_e32 v142, v142, v144
	v_xor_b32_e32 v144, vcc_lo, v46
	v_cmp_ne_u32_e32 vcc, 0, v143
	v_readlane_b32 s6, v254, 5
	v_xor_b32_e32 v143, vcc_hi, v69
	v_readlane_b32 s7, v254, 6
	;; [unrolled: 8-line block ×4, first 2 shown]
	v_and_b32_e32 v141, v141, v143
	v_cndmask_b32_e64 v143, 0, 1, s[6:7]
	v_and_b32_e32 v142, v142, v144
	v_xor_b32_e32 v144, vcc_lo, v68
	v_cmp_ne_u32_e32 vcc, 0, v143
	v_and_b32_e32 v142, v142, v144
	v_xor_b32_e32 v144, vcc_lo, v72
	v_xor_b32_e32 v143, vcc_hi, v75
	v_and_b32_e32 v142, v142, v144
	v_and_b32_e32 v141, v141, v143
	v_mbcnt_lo_u32_b32 v143, v142, 0
	v_mbcnt_hi_u32_b32 v143, v141, v143
	v_cmp_eq_u32_e32 vcc, 0, v143
	s_and_saveexec_b64 s[6:7], vcc
	s_cbranch_execz .LBB5_14
; %bb.13:                               ;   in Loop: Header=BB5_2 Depth=1
	v_bcnt_u32_b32 v142, v142, 0
	v_bcnt_u32_b32 v141, v141, v142
	buffer_load_dword v142, off, s[96:99], 0 offset:52 ; 4-byte Folded Reload
	s_waitcnt vmcnt(0)
	ds_add_u32 v142, v141
.LBB5_14:                               ;   in Loop: Header=BB5_2 Depth=1
	s_or_b64 exec, exec, s[6:7]
	v_readlane_b32 s6, v254, 11
	v_cndmask_b32_e64 v141, 0, 1, s[46:47]
	v_readlane_b32 s7, v254, 12
	v_cmp_ne_u32_e32 vcc, 0, v141
	v_cndmask_b32_e64 v143, 0, 1, s[6:7]
	v_xor_b32_e32 v141, vcc_hi, v183
	v_xor_b32_e32 v142, vcc_lo, v182
	v_cmp_ne_u32_e32 vcc, 0, v143
	v_readlane_b32 s6, v254, 13
	v_and_b32_e32 v141, exec_hi, v141
	v_xor_b32_e32 v143, vcc_hi, v76
	v_readlane_b32 s7, v254, 14
	v_and_b32_e32 v141, v141, v143
	v_cndmask_b32_e64 v143, 0, 1, s[6:7]
	v_xor_b32_e32 v144, vcc_lo, v73
	v_cmp_ne_u32_e32 vcc, 0, v143
	v_readlane_b32 s6, v254, 15
	v_xor_b32_e32 v143, vcc_hi, v77
	v_readlane_b32 s7, v254, 16
	v_and_b32_e32 v142, exec_lo, v142
	v_and_b32_e32 v141, v141, v143
	v_cndmask_b32_e64 v143, 0, 1, s[6:7]
	v_and_b32_e32 v142, v142, v144
	v_xor_b32_e32 v144, vcc_lo, v74
	v_cmp_ne_u32_e32 vcc, 0, v143
	v_readlane_b32 s6, v254, 17
	v_xor_b32_e32 v143, vcc_hi, v81
	v_readlane_b32 s7, v254, 18
	v_and_b32_e32 v141, v141, v143
	v_cndmask_b32_e64 v143, 0, 1, s[6:7]
	v_and_b32_e32 v142, v142, v144
	v_xor_b32_e32 v144, vcc_lo, v78
	v_cmp_ne_u32_e32 vcc, 0, v143
	v_readlane_b32 s6, v254, 19
	v_xor_b32_e32 v143, vcc_hi, v82
	v_readlane_b32 s7, v254, 20
	;; [unrolled: 8-line block ×4, first 2 shown]
	v_and_b32_e32 v141, v141, v143
	v_cndmask_b32_e64 v143, 0, 1, s[6:7]
	v_and_b32_e32 v142, v142, v144
	v_xor_b32_e32 v144, vcc_lo, v84
	v_cmp_ne_u32_e32 vcc, 0, v143
	v_and_b32_e32 v142, v142, v144
	v_xor_b32_e32 v144, vcc_lo, v85
	v_xor_b32_e32 v143, vcc_hi, v88
	v_and_b32_e32 v142, v142, v144
	v_and_b32_e32 v141, v141, v143
	v_mbcnt_lo_u32_b32 v143, v142, 0
	v_mbcnt_hi_u32_b32 v143, v141, v143
	v_cmp_eq_u32_e32 vcc, 0, v143
	s_and_saveexec_b64 s[6:7], vcc
	s_cbranch_execz .LBB5_16
; %bb.15:                               ;   in Loop: Header=BB5_2 Depth=1
	v_bcnt_u32_b32 v142, v142, 0
	v_bcnt_u32_b32 v141, v141, v142
	buffer_load_dword v142, off, s[96:99], 0 offset:56 ; 4-byte Folded Reload
	s_waitcnt vmcnt(0)
	ds_add_u32 v142, v141
.LBB5_16:                               ;   in Loop: Header=BB5_2 Depth=1
	s_or_b64 exec, exec, s[6:7]
	v_readlane_b32 s6, v254, 25
	v_cndmask_b32_e64 v141, 0, 1, s[48:49]
	v_readlane_b32 s7, v254, 26
	v_cmp_ne_u32_e32 vcc, 0, v141
	v_cndmask_b32_e64 v143, 0, 1, s[6:7]
	v_xor_b32_e32 v141, vcc_hi, v185
	v_xor_b32_e32 v142, vcc_lo, v184
	v_cmp_ne_u32_e32 vcc, 0, v143
	v_readlane_b32 s6, v254, 27
	v_and_b32_e32 v141, exec_hi, v141
	v_xor_b32_e32 v143, vcc_hi, v89
	v_readlane_b32 s7, v254, 28
	v_and_b32_e32 v141, v141, v143
	v_cndmask_b32_e64 v143, 0, 1, s[6:7]
	v_xor_b32_e32 v144, vcc_lo, v86
	v_cmp_ne_u32_e32 vcc, 0, v143
	v_readlane_b32 s6, v254, 29
	v_xor_b32_e32 v143, vcc_hi, v93
	v_readlane_b32 s7, v254, 30
	v_and_b32_e32 v142, exec_lo, v142
	v_and_b32_e32 v141, v141, v143
	v_cndmask_b32_e64 v143, 0, 1, s[6:7]
	v_and_b32_e32 v142, v142, v144
	v_xor_b32_e32 v144, vcc_lo, v90
	v_cmp_ne_u32_e32 vcc, 0, v143
	v_readlane_b32 s6, v254, 31
	v_xor_b32_e32 v143, vcc_hi, v94
	v_readlane_b32 s7, v254, 32
	v_and_b32_e32 v141, v141, v143
	v_cndmask_b32_e64 v143, 0, 1, s[6:7]
	v_and_b32_e32 v142, v142, v144
	v_xor_b32_e32 v144, vcc_lo, v91
	v_cmp_ne_u32_e32 vcc, 0, v143
	v_readlane_b32 s6, v254, 33
	v_xor_b32_e32 v143, vcc_hi, v95
	v_readlane_b32 s7, v254, 34
	v_and_b32_e32 v141, v141, v143
	v_cndmask_b32_e64 v143, 0, 1, s[6:7]
	v_and_b32_e32 v142, v142, v144
	v_xor_b32_e32 v144, vcc_lo, v92
	v_cmp_ne_u32_e32 vcc, 0, v143
	v_readlane_b32 s6, v254, 35
	v_xor_b32_e32 v143, vcc_hi, v66
	v_readlane_b32 s7, v254, 36
	v_and_b32_e32 v141, v141, v143
	v_cndmask_b32_e64 v143, 0, 1, s[6:7]
	v_and_b32_e32 v142, v142, v144
	v_xor_b32_e32 v144, vcc_lo, v96
	v_cmp_ne_u32_e32 vcc, 0, v143
	v_readlane_b32 s6, v254, 37
	v_xor_b32_e32 v143, vcc_hi, v67
	v_readlane_b32 s7, v254, 38
	v_and_b32_e32 v141, v141, v143
	v_cndmask_b32_e64 v143, 0, 1, s[6:7]
	v_and_b32_e32 v142, v142, v144
	v_xor_b32_e32 v144, vcc_lo, v97
	v_cmp_ne_u32_e32 vcc, 0, v143
	v_and_b32_e32 v142, v142, v144
	v_xor_b32_e32 v144, vcc_lo, v98
	v_xor_b32_e32 v143, vcc_hi, v63
	v_and_b32_e32 v142, v142, v144
	v_and_b32_e32 v141, v141, v143
	v_mbcnt_lo_u32_b32 v143, v142, 0
	v_mbcnt_hi_u32_b32 v143, v141, v143
	v_cmp_eq_u32_e32 vcc, 0, v143
	s_and_saveexec_b64 s[6:7], vcc
	s_cbranch_execz .LBB5_18
; %bb.17:                               ;   in Loop: Header=BB5_2 Depth=1
	v_bcnt_u32_b32 v142, v142, 0
	v_bcnt_u32_b32 v141, v141, v142
	buffer_load_dword v142, off, s[96:99], 0 offset:60 ; 4-byte Folded Reload
	s_waitcnt vmcnt(0)
	ds_add_u32 v142, v141
.LBB5_18:                               ;   in Loop: Header=BB5_2 Depth=1
	s_or_b64 exec, exec, s[6:7]
	v_readlane_b32 s6, v254, 39
	v_cndmask_b32_e64 v141, 0, 1, s[50:51]
	v_readlane_b32 s7, v254, 40
	v_cmp_ne_u32_e32 vcc, 0, v141
	v_cndmask_b32_e64 v143, 0, 1, s[6:7]
	v_xor_b32_e32 v141, vcc_hi, v187
	v_xor_b32_e32 v142, vcc_lo, v186
	v_cmp_ne_u32_e32 vcc, 0, v143
	v_readlane_b32 s6, v254, 41
	v_and_b32_e32 v141, exec_hi, v141
	v_xor_b32_e32 v143, vcc_hi, v64
	v_readlane_b32 s7, v254, 42
	v_and_b32_e32 v141, v141, v143
	v_cndmask_b32_e64 v143, 0, 1, s[6:7]
	v_xor_b32_e32 v144, vcc_lo, v99
	v_cmp_ne_u32_e32 vcc, 0, v143
	v_readlane_b32 s6, v254, 43
	v_xor_b32_e32 v143, vcc_hi, v61
	v_readlane_b32 s7, v254, 44
	v_and_b32_e32 v142, exec_lo, v142
	v_and_b32_e32 v141, v141, v143
	v_cndmask_b32_e64 v143, 0, 1, s[6:7]
	v_and_b32_e32 v142, v142, v144
	v_xor_b32_e32 v144, vcc_lo, v100
	v_cmp_ne_u32_e32 vcc, 0, v143
	v_readlane_b32 s6, v254, 45
	v_xor_b32_e32 v143, vcc_hi, v62
	v_readlane_b32 s7, v254, 46
	v_and_b32_e32 v141, v141, v143
	v_cndmask_b32_e64 v143, 0, 1, s[6:7]
	v_and_b32_e32 v142, v142, v144
	v_xor_b32_e32 v144, vcc_lo, v101
	v_cmp_ne_u32_e32 vcc, 0, v143
	v_readlane_b32 s6, v254, 47
	v_xor_b32_e32 v143, vcc_hi, v58
	v_readlane_b32 s7, v254, 48
	;; [unrolled: 8-line block ×4, first 2 shown]
	v_and_b32_e32 v141, v141, v143
	v_cndmask_b32_e64 v143, 0, 1, s[6:7]
	v_and_b32_e32 v142, v142, v144
	v_xor_b32_e32 v144, vcc_lo, v104
	v_cmp_ne_u32_e32 vcc, 0, v143
	v_and_b32_e32 v142, v142, v144
	v_xor_b32_e32 v144, vcc_lo, v105
	v_xor_b32_e32 v143, vcc_hi, v56
	v_and_b32_e32 v142, v142, v144
	v_and_b32_e32 v141, v141, v143
	v_mbcnt_lo_u32_b32 v143, v142, 0
	v_mbcnt_hi_u32_b32 v143, v141, v143
	v_cmp_eq_u32_e32 vcc, 0, v143
	s_and_saveexec_b64 s[6:7], vcc
	s_cbranch_execz .LBB5_20
; %bb.19:                               ;   in Loop: Header=BB5_2 Depth=1
	v_bcnt_u32_b32 v142, v142, 0
	v_bcnt_u32_b32 v141, v141, v142
	buffer_load_dword v142, off, s[96:99], 0 offset:64 ; 4-byte Folded Reload
	s_waitcnt vmcnt(0)
	ds_add_u32 v142, v141
.LBB5_20:                               ;   in Loop: Header=BB5_2 Depth=1
	s_or_b64 exec, exec, s[6:7]
	v_readlane_b32 s6, v254, 53
	v_cndmask_b32_e64 v141, 0, 1, s[52:53]
	v_readlane_b32 s7, v254, 54
	v_cmp_ne_u32_e32 vcc, 0, v141
	v_cndmask_b32_e64 v143, 0, 1, s[6:7]
	v_xor_b32_e32 v141, vcc_hi, v189
	v_xor_b32_e32 v142, vcc_lo, v188
	v_cmp_ne_u32_e32 vcc, 0, v143
	v_readlane_b32 s6, v254, 55
	v_and_b32_e32 v141, exec_hi, v141
	v_xor_b32_e32 v143, vcc_hi, v53
	v_readlane_b32 s7, v254, 56
	v_and_b32_e32 v141, v141, v143
	v_cndmask_b32_e64 v143, 0, 1, s[6:7]
	v_xor_b32_e32 v144, vcc_lo, v106
	v_cmp_ne_u32_e32 vcc, 0, v143
	v_readlane_b32 s6, v254, 57
	v_xor_b32_e32 v143, vcc_hi, v54
	v_readlane_b32 s7, v254, 58
	v_and_b32_e32 v142, exec_lo, v142
	v_and_b32_e32 v141, v141, v143
	v_cndmask_b32_e64 v143, 0, 1, s[6:7]
	v_and_b32_e32 v142, v142, v144
	v_xor_b32_e32 v144, vcc_lo, v107
	v_cmp_ne_u32_e32 vcc, 0, v143
	v_readlane_b32 s6, v254, 59
	v_xor_b32_e32 v143, vcc_hi, v50
	v_readlane_b32 s7, v254, 60
	v_and_b32_e32 v141, v141, v143
	v_cndmask_b32_e64 v143, 0, 1, s[6:7]
	v_and_b32_e32 v142, v142, v144
	v_xor_b32_e32 v144, vcc_lo, v108
	v_cmp_ne_u32_e32 vcc, 0, v143
	v_readlane_b32 s6, v254, 61
	v_xor_b32_e32 v143, vcc_hi, v51
	v_readlane_b32 s7, v254, 62
	;; [unrolled: 8-line block ×4, first 2 shown]
	v_and_b32_e32 v141, v141, v143
	v_cndmask_b32_e64 v143, 0, 1, s[6:7]
	v_and_b32_e32 v142, v142, v144
	v_xor_b32_e32 v144, vcc_lo, v111
	v_cmp_ne_u32_e32 vcc, 0, v143
	v_and_b32_e32 v142, v142, v144
	v_xor_b32_e32 v144, vcc_lo, v112
	v_xor_b32_e32 v143, vcc_hi, v44
	v_and_b32_e32 v142, v142, v144
	v_and_b32_e32 v141, v141, v143
	v_mbcnt_lo_u32_b32 v143, v142, 0
	v_mbcnt_hi_u32_b32 v143, v141, v143
	v_cmp_eq_u32_e32 vcc, 0, v143
	s_and_saveexec_b64 s[6:7], vcc
	s_cbranch_execz .LBB5_22
; %bb.21:                               ;   in Loop: Header=BB5_2 Depth=1
	v_bcnt_u32_b32 v142, v142, 0
	v_bcnt_u32_b32 v141, v141, v142
	buffer_load_dword v142, off, s[96:99], 0 offset:68 ; 4-byte Folded Reload
	s_waitcnt vmcnt(0)
	ds_add_u32 v142, v141
.LBB5_22:                               ;   in Loop: Header=BB5_2 Depth=1
	s_or_b64 exec, exec, s[6:7]
	v_readlane_b32 s6, v255, 3
	v_cndmask_b32_e64 v141, 0, 1, s[54:55]
	v_readlane_b32 s7, v255, 4
	v_cmp_ne_u32_e32 vcc, 0, v141
	v_cndmask_b32_e64 v143, 0, 1, s[6:7]
	v_xor_b32_e32 v141, vcc_hi, v191
	v_xor_b32_e32 v142, vcc_lo, v190
	v_cmp_ne_u32_e32 vcc, 0, v143
	v_readlane_b32 s6, v255, 5
	v_and_b32_e32 v141, exec_hi, v141
	v_xor_b32_e32 v143, vcc_hi, v45
	v_readlane_b32 s7, v255, 6
	v_and_b32_e32 v141, v141, v143
	v_cndmask_b32_e64 v143, 0, 1, s[6:7]
	v_xor_b32_e32 v144, vcc_lo, v113
	v_cmp_ne_u32_e32 vcc, 0, v143
	v_readlane_b32 s6, v255, 7
	v_xor_b32_e32 v143, vcc_hi, v42
	v_readlane_b32 s7, v255, 8
	v_and_b32_e32 v142, exec_lo, v142
	v_and_b32_e32 v141, v141, v143
	v_cndmask_b32_e64 v143, 0, 1, s[6:7]
	v_and_b32_e32 v142, v142, v144
	v_xor_b32_e32 v144, vcc_lo, v114
	v_cmp_ne_u32_e32 vcc, 0, v143
	v_readlane_b32 s6, v255, 9
	v_xor_b32_e32 v143, vcc_hi, v43
	v_readlane_b32 s7, v255, 10
	v_and_b32_e32 v141, v141, v143
	v_cndmask_b32_e64 v143, 0, 1, s[6:7]
	v_and_b32_e32 v142, v142, v144
	v_xor_b32_e32 v144, vcc_lo, v115
	v_cmp_ne_u32_e32 vcc, 0, v143
	v_readlane_b32 s6, v255, 11
	v_xor_b32_e32 v143, vcc_hi, v39
	v_readlane_b32 s7, v255, 12
	;; [unrolled: 8-line block ×4, first 2 shown]
	v_and_b32_e32 v141, v141, v143
	v_cndmask_b32_e64 v143, 0, 1, s[6:7]
	v_and_b32_e32 v142, v142, v144
	v_xor_b32_e32 v144, vcc_lo, v118
	v_cmp_ne_u32_e32 vcc, 0, v143
	v_and_b32_e32 v142, v142, v144
	v_xor_b32_e32 v144, vcc_lo, v119
	v_xor_b32_e32 v143, vcc_hi, v37
	v_and_b32_e32 v142, v142, v144
	v_and_b32_e32 v141, v141, v143
	v_mbcnt_lo_u32_b32 v143, v142, 0
	v_mbcnt_hi_u32_b32 v143, v141, v143
	v_cmp_eq_u32_e32 vcc, 0, v143
	s_and_saveexec_b64 s[6:7], vcc
	s_cbranch_execz .LBB5_24
; %bb.23:                               ;   in Loop: Header=BB5_2 Depth=1
	v_bcnt_u32_b32 v142, v142, 0
	v_bcnt_u32_b32 v141, v141, v142
	buffer_load_dword v142, off, s[96:99], 0 offset:72 ; 4-byte Folded Reload
	s_waitcnt vmcnt(0)
	ds_add_u32 v142, v141
.LBB5_24:                               ;   in Loop: Header=BB5_2 Depth=1
	s_or_b64 exec, exec, s[6:7]
	v_readlane_b32 s6, v255, 17
	v_cndmask_b32_e64 v141, 0, 1, s[56:57]
	v_readlane_b32 s7, v255, 18
	v_cmp_ne_u32_e32 vcc, 0, v141
	v_cndmask_b32_e64 v143, 0, 1, s[6:7]
	v_xor_b32_e32 v141, vcc_hi, v193
	v_xor_b32_e32 v142, vcc_lo, v192
	v_cmp_ne_u32_e32 vcc, 0, v143
	v_readlane_b32 s6, v255, 19
	v_and_b32_e32 v141, exec_hi, v141
	v_xor_b32_e32 v143, vcc_hi, v33
	v_readlane_b32 s7, v255, 20
	v_and_b32_e32 v141, v141, v143
	v_cndmask_b32_e64 v143, 0, 1, s[6:7]
	v_xor_b32_e32 v144, vcc_lo, v120
	v_cmp_ne_u32_e32 vcc, 0, v143
	v_readlane_b32 s6, v255, 21
	v_xor_b32_e32 v143, vcc_hi, v34
	v_readlane_b32 s7, v255, 22
	v_and_b32_e32 v142, exec_lo, v142
	v_and_b32_e32 v141, v141, v143
	v_cndmask_b32_e64 v143, 0, 1, s[6:7]
	v_and_b32_e32 v142, v142, v144
	v_xor_b32_e32 v144, vcc_lo, v121
	v_cmp_ne_u32_e32 vcc, 0, v143
	v_readlane_b32 s6, v255, 23
	v_xor_b32_e32 v143, vcc_hi, v205
	v_readlane_b32 s7, v255, 24
	v_and_b32_e32 v141, v141, v143
	v_cndmask_b32_e64 v143, 0, 1, s[6:7]
	v_and_b32_e32 v142, v142, v144
	v_xor_b32_e32 v144, vcc_lo, v122
	v_cmp_ne_u32_e32 vcc, 0, v143
	v_readlane_b32 s6, v255, 25
	v_xor_b32_e32 v143, vcc_hi, v207
	v_readlane_b32 s7, v255, 26
	;; [unrolled: 8-line block ×4, first 2 shown]
	v_and_b32_e32 v141, v141, v143
	v_cndmask_b32_e64 v143, 0, 1, s[6:7]
	v_and_b32_e32 v142, v142, v144
	v_xor_b32_e32 v144, vcc_lo, v125
	v_cmp_ne_u32_e32 vcc, 0, v143
	v_and_b32_e32 v142, v142, v144
	v_xor_b32_e32 v144, vcc_lo, v126
	v_xor_b32_e32 v143, vcc_hi, v211
	v_and_b32_e32 v142, v142, v144
	v_and_b32_e32 v141, v141, v143
	v_mbcnt_lo_u32_b32 v143, v142, 0
	v_mbcnt_hi_u32_b32 v143, v141, v143
	v_cmp_eq_u32_e32 vcc, 0, v143
	s_and_saveexec_b64 s[6:7], vcc
	s_cbranch_execz .LBB5_26
; %bb.25:                               ;   in Loop: Header=BB5_2 Depth=1
	v_bcnt_u32_b32 v142, v142, 0
	v_bcnt_u32_b32 v141, v141, v142
	buffer_load_dword v142, off, s[96:99], 0 offset:76 ; 4-byte Folded Reload
	s_waitcnt vmcnt(0)
	ds_add_u32 v142, v141
.LBB5_26:                               ;   in Loop: Header=BB5_2 Depth=1
	s_or_b64 exec, exec, s[6:7]
	v_readlane_b32 s6, v255, 31
	v_cndmask_b32_e64 v141, 0, 1, s[58:59]
	v_readlane_b32 s7, v255, 32
	v_cmp_ne_u32_e32 vcc, 0, v141
	v_cndmask_b32_e64 v143, 0, 1, s[6:7]
	v_xor_b32_e32 v141, vcc_hi, v195
	v_xor_b32_e32 v142, vcc_lo, v194
	v_cmp_ne_u32_e32 vcc, 0, v143
	v_readlane_b32 s6, v255, 33
	v_and_b32_e32 v141, exec_hi, v141
	v_xor_b32_e32 v143, vcc_hi, v210
	v_readlane_b32 s7, v255, 34
	v_and_b32_e32 v141, v141, v143
	v_cndmask_b32_e64 v143, 0, 1, s[6:7]
	v_xor_b32_e32 v144, vcc_lo, v127
	v_cmp_ne_u32_e32 vcc, 0, v143
	v_readlane_b32 s6, v255, 35
	v_xor_b32_e32 v143, vcc_hi, v209
	v_readlane_b32 s7, v255, 36
	v_and_b32_e32 v142, exec_lo, v142
	v_and_b32_e32 v141, v141, v143
	v_cndmask_b32_e64 v143, 0, 1, s[6:7]
	v_and_b32_e32 v142, v142, v144
	v_xor_b32_e32 v144, vcc_lo, v128
	v_cmp_ne_u32_e32 vcc, 0, v143
	v_readlane_b32 s6, v255, 37
	v_xor_b32_e32 v143, vcc_hi, v208
	v_readlane_b32 s7, v255, 38
	v_and_b32_e32 v141, v141, v143
	v_cndmask_b32_e64 v143, 0, 1, s[6:7]
	v_and_b32_e32 v142, v142, v144
	v_xor_b32_e32 v144, vcc_lo, v129
	v_cmp_ne_u32_e32 vcc, 0, v143
	v_readlane_b32 s6, v255, 39
	v_xor_b32_e32 v143, vcc_hi, v215
	v_readlane_b32 s7, v255, 40
	;; [unrolled: 8-line block ×3, first 2 shown]
	v_and_b32_e32 v141, v141, v143
	v_cndmask_b32_e64 v143, 0, 1, s[6:7]
	v_and_b32_e32 v142, v142, v144
	v_xor_b32_e32 v144, vcc_lo, v219
	v_cmp_ne_u32_e32 vcc, 0, v143
	v_xor_b32_e32 v143, vcc_hi, v212
	v_and_b32_e32 v141, v141, v143
	v_cndmask_b32_e64 v143, 0, 1, s[72:73]
	v_and_b32_e32 v142, v142, v144
	v_xor_b32_e32 v144, vcc_lo, v220
	v_cmp_ne_u32_e32 vcc, 0, v143
	v_and_b32_e32 v142, v142, v144
	v_xor_b32_e32 v144, vcc_lo, v221
	v_xor_b32_e32 v143, vcc_hi, v213
	v_and_b32_e32 v142, v142, v144
	v_and_b32_e32 v141, v141, v143
	v_mbcnt_lo_u32_b32 v143, v142, 0
	v_mbcnt_hi_u32_b32 v143, v141, v143
	v_cmp_eq_u32_e32 vcc, 0, v143
	s_and_saveexec_b64 s[6:7], vcc
	s_cbranch_execz .LBB5_28
; %bb.27:                               ;   in Loop: Header=BB5_2 Depth=1
	v_bcnt_u32_b32 v142, v142, 0
	v_bcnt_u32_b32 v141, v141, v142
	buffer_load_dword v142, off, s[96:99], 0 offset:80 ; 4-byte Folded Reload
	s_waitcnt vmcnt(0)
	ds_add_u32 v142, v141
.LBB5_28:                               ;   in Loop: Header=BB5_2 Depth=1
	s_or_b64 exec, exec, s[6:7]
	v_cndmask_b32_e64 v141, 0, 1, s[60:61]
	v_cmp_ne_u32_e32 vcc, 0, v141
	v_cndmask_b32_e64 v143, 0, 1, s[74:75]
	v_xor_b32_e32 v141, vcc_hi, v197
	v_xor_b32_e32 v142, vcc_lo, v196
	v_cmp_ne_u32_e32 vcc, 0, v143
	v_and_b32_e32 v141, exec_hi, v141
	v_xor_b32_e32 v143, vcc_hi, v216
	v_and_b32_e32 v141, v141, v143
	v_cndmask_b32_e64 v143, 0, 1, s[76:77]
	v_xor_b32_e32 v144, vcc_lo, v222
	v_cmp_ne_u32_e32 vcc, 0, v143
	v_xor_b32_e32 v143, vcc_hi, v217
	v_and_b32_e32 v142, exec_lo, v142
	v_and_b32_e32 v141, v141, v143
	v_cndmask_b32_e64 v143, 0, 1, s[78:79]
	v_and_b32_e32 v142, v142, v144
	v_xor_b32_e32 v144, vcc_lo, v223
	v_cmp_ne_u32_e32 vcc, 0, v143
	v_xor_b32_e32 v143, vcc_hi, v218
	v_and_b32_e32 v141, v141, v143
	v_cndmask_b32_e64 v143, 0, 1, s[80:81]
	v_and_b32_e32 v142, v142, v144
	v_xor_b32_e32 v144, vcc_lo, v224
	v_cmp_ne_u32_e32 vcc, 0, v143
	v_xor_b32_e32 v143, vcc_hi, v250
	v_and_b32_e32 v141, v141, v143
	v_cndmask_b32_e64 v143, 0, 1, s[82:83]
	v_and_b32_e32 v142, v142, v144
	v_xor_b32_e32 v144, vcc_lo, v225
	v_cmp_ne_u32_e32 vcc, 0, v143
	v_xor_b32_e32 v143, vcc_hi, v251
	v_and_b32_e32 v141, v141, v143
	v_cndmask_b32_e64 v143, 0, 1, s[84:85]
	v_and_b32_e32 v142, v142, v144
	v_xor_b32_e32 v144, vcc_lo, v226
	v_cmp_ne_u32_e32 vcc, 0, v143
	v_xor_b32_e32 v143, vcc_hi, v252
	v_and_b32_e32 v141, v141, v143
	v_cndmask_b32_e64 v143, 0, 1, s[86:87]
	v_and_b32_e32 v142, v142, v144
	v_xor_b32_e32 v144, vcc_lo, v227
	v_cmp_ne_u32_e32 vcc, 0, v143
	v_and_b32_e32 v142, v142, v144
	v_xor_b32_e32 v144, vcc_lo, v147
	v_xor_b32_e32 v143, vcc_hi, v228
	v_and_b32_e32 v142, v142, v144
	v_and_b32_e32 v141, v141, v143
	v_mbcnt_lo_u32_b32 v143, v142, 0
	v_mbcnt_hi_u32_b32 v143, v141, v143
	v_cmp_eq_u32_e32 vcc, 0, v143
	s_and_saveexec_b64 s[6:7], vcc
	s_cbranch_execz .LBB5_30
; %bb.29:                               ;   in Loop: Header=BB5_2 Depth=1
	v_bcnt_u32_b32 v142, v142, 0
	v_bcnt_u32_b32 v141, v141, v142
	buffer_load_dword v142, off, s[96:99], 0 offset:84 ; 4-byte Folded Reload
	s_waitcnt vmcnt(0)
	ds_add_u32 v142, v141
.LBB5_30:                               ;   in Loop: Header=BB5_2 Depth=1
	s_or_b64 exec, exec, s[6:7]
	v_cndmask_b32_e64 v141, 0, 1, s[62:63]
	v_cmp_ne_u32_e32 vcc, 0, v141
	v_cndmask_b32_e64 v143, 0, 1, s[88:89]
	v_xor_b32_e32 v141, vcc_hi, v199
	v_xor_b32_e32 v142, vcc_lo, v198
	v_cmp_ne_u32_e32 vcc, 0, v143
	v_and_b32_e32 v141, exec_hi, v141
	v_xor_b32_e32 v143, vcc_hi, v229
	v_and_b32_e32 v141, v141, v143
	v_cndmask_b32_e64 v143, 0, 1, s[90:91]
	v_xor_b32_e32 v144, vcc_lo, v0
	v_cmp_ne_u32_e32 vcc, 0, v143
	v_xor_b32_e32 v143, vcc_hi, v230
	v_and_b32_e32 v142, exec_lo, v142
	v_and_b32_e32 v141, v141, v143
	v_cndmask_b32_e64 v143, 0, 1, s[92:93]
	v_and_b32_e32 v142, v142, v144
	v_xor_b32_e32 v144, vcc_lo, v148
	v_cmp_ne_u32_e32 vcc, 0, v143
	v_xor_b32_e32 v143, vcc_hi, v231
	v_and_b32_e32 v141, v141, v143
	v_cndmask_b32_e64 v143, 0, 1, s[94:95]
	v_and_b32_e32 v142, v142, v144
	v_xor_b32_e32 v144, vcc_lo, v149
	v_cmp_ne_u32_e32 vcc, 0, v143
	v_xor_b32_e32 v143, vcc_hi, v232
	v_and_b32_e32 v141, v141, v143
	v_cndmask_b32_e64 v143, 0, 1, s[0:1]
	v_and_b32_e32 v142, v142, v144
	v_xor_b32_e32 v144, vcc_lo, v150
	v_cmp_ne_u32_e32 vcc, 0, v143
	v_xor_b32_e32 v143, vcc_hi, v233
	;; [unrolled: 61-line block ×4, first 2 shown]
	v_and_b32_e32 v141, v141, v143
	v_cndmask_b32_e64 v143, 0, 1, s[30:31]
	v_and_b32_e32 v142, v142, v144
	v_xor_b32_e32 v144, vcc_lo, v138
	v_cmp_ne_u32_e32 vcc, 0, v143
	v_xor_b32_e32 v143, vcc_hi, v248
	v_and_b32_e32 v141, v141, v143
	v_cndmask_b32_e64 v143, 0, 1, s[34:35]
	v_and_b32_e32 v142, v142, v144
	v_xor_b32_e32 v144, vcc_lo, v139
	v_cmp_ne_u32_e32 vcc, 0, v143
	v_and_b32_e32 v142, v142, v144
	v_xor_b32_e32 v144, vcc_lo, v140
	v_xor_b32_e32 v143, vcc_hi, v249
	v_and_b32_e32 v142, v142, v144
	v_and_b32_e32 v141, v141, v143
	v_mbcnt_lo_u32_b32 v143, v142, 0
	v_mbcnt_hi_u32_b32 v143, v141, v143
	v_cmp_eq_u32_e32 vcc, 0, v143
	s_and_saveexec_b64 s[6:7], vcc
	s_cbranch_execz .LBB5_1
; %bb.35:                               ;   in Loop: Header=BB5_2 Depth=1
	v_bcnt_u32_b32 v142, v142, 0
	v_bcnt_u32_b32 v141, v141, v142
	buffer_load_dword v142, off, s[96:99], 0 offset:96 ; 4-byte Folded Reload
	s_waitcnt vmcnt(0)
	ds_add_u32 v142, v141
	s_branch .LBB5_1
.LBB5_36:
	s_and_saveexec_b64 s[0:1], s[70:71]
	s_cbranch_execz .LBB5_38
; %bb.37:
	buffer_load_dword v0, off, s[96:99], 0 offset:100 ; 4-byte Folded Reload
	buffer_load_dword v3, off, s[96:99], 0 offset:32 ; 4-byte Folded Reload
	v_readlane_b32 s0, v253, 0
	v_mov_b32_e32 v1, 0
	s_waitcnt vmcnt(1)
	v_lshl_or_b32 v0, s0, 8, v0
	s_waitcnt vmcnt(0)
	ds_read_b32 v3, v3
	v_lshlrev_b64 v[0:1], 2, v[0:1]
	v_readlane_b32 s0, v253, 1
	v_readlane_b32 s2, v253, 3
	;; [unrolled: 1-line block ×3, first 2 shown]
	v_mov_b32_e32 v2, s3
	v_add_co_u32_e32 v0, vcc, s2, v0
	v_addc_co_u32_e32 v1, vcc, v2, v1, vcc
	v_readlane_b32 s1, v253, 2
	s_waitcnt lgkmcnt(0)
	global_store_dword v[0:1], v3, off
.LBB5_38:
	s_endpgm
	.section	.rodata,"a",@progbits
	.p2align	6, 0x0
	.amdhsa_kernel _Z6kernelI9histogramILN6hipcub23BlockHistogramAlgorithmE0EEiLj256ELj16ELj256ELj100EEvPKT0_PS4_
		.amdhsa_group_segment_fixed_size 1024
		.amdhsa_private_segment_fixed_size 200
		.amdhsa_kernarg_size 16
		.amdhsa_user_sgpr_count 6
		.amdhsa_user_sgpr_private_segment_buffer 1
		.amdhsa_user_sgpr_dispatch_ptr 0
		.amdhsa_user_sgpr_queue_ptr 0
		.amdhsa_user_sgpr_kernarg_segment_ptr 1
		.amdhsa_user_sgpr_dispatch_id 0
		.amdhsa_user_sgpr_flat_scratch_init 0
		.amdhsa_user_sgpr_private_segment_size 0
		.amdhsa_uses_dynamic_stack 0
		.amdhsa_system_sgpr_private_segment_wavefront_offset 1
		.amdhsa_system_sgpr_workgroup_id_x 1
		.amdhsa_system_sgpr_workgroup_id_y 0
		.amdhsa_system_sgpr_workgroup_id_z 0
		.amdhsa_system_sgpr_workgroup_info 0
		.amdhsa_system_vgpr_workitem_id 0
		.amdhsa_next_free_vgpr 256
		.amdhsa_next_free_sgpr 100
		.amdhsa_reserve_vcc 1
		.amdhsa_reserve_flat_scratch 0
		.amdhsa_float_round_mode_32 0
		.amdhsa_float_round_mode_16_64 0
		.amdhsa_float_denorm_mode_32 3
		.amdhsa_float_denorm_mode_16_64 3
		.amdhsa_dx10_clamp 1
		.amdhsa_ieee_mode 1
		.amdhsa_fp16_overflow 0
		.amdhsa_exception_fp_ieee_invalid_op 0
		.amdhsa_exception_fp_denorm_src 0
		.amdhsa_exception_fp_ieee_div_zero 0
		.amdhsa_exception_fp_ieee_overflow 0
		.amdhsa_exception_fp_ieee_underflow 0
		.amdhsa_exception_fp_ieee_inexact 0
		.amdhsa_exception_int_div_zero 0
	.end_amdhsa_kernel
	.section	.text._Z6kernelI9histogramILN6hipcub23BlockHistogramAlgorithmE0EEiLj256ELj16ELj256ELj100EEvPKT0_PS4_,"axG",@progbits,_Z6kernelI9histogramILN6hipcub23BlockHistogramAlgorithmE0EEiLj256ELj16ELj256ELj100EEvPKT0_PS4_,comdat
.Lfunc_end5:
	.size	_Z6kernelI9histogramILN6hipcub23BlockHistogramAlgorithmE0EEiLj256ELj16ELj256ELj100EEvPKT0_PS4_, .Lfunc_end5-_Z6kernelI9histogramILN6hipcub23BlockHistogramAlgorithmE0EEiLj256ELj16ELj256ELj100EEvPKT0_PS4_
                                        ; -- End function
	.set _Z6kernelI9histogramILN6hipcub23BlockHistogramAlgorithmE0EEiLj256ELj16ELj256ELj100EEvPKT0_PS4_.num_vgpr, 256
	.set _Z6kernelI9histogramILN6hipcub23BlockHistogramAlgorithmE0EEiLj256ELj16ELj256ELj100EEvPKT0_PS4_.num_agpr, 0
	.set _Z6kernelI9histogramILN6hipcub23BlockHistogramAlgorithmE0EEiLj256ELj16ELj256ELj100EEvPKT0_PS4_.numbered_sgpr, 100
	.set _Z6kernelI9histogramILN6hipcub23BlockHistogramAlgorithmE0EEiLj256ELj16ELj256ELj100EEvPKT0_PS4_.num_named_barrier, 0
	.set _Z6kernelI9histogramILN6hipcub23BlockHistogramAlgorithmE0EEiLj256ELj16ELj256ELj100EEvPKT0_PS4_.private_seg_size, 200
	.set _Z6kernelI9histogramILN6hipcub23BlockHistogramAlgorithmE0EEiLj256ELj16ELj256ELj100EEvPKT0_PS4_.uses_vcc, 1
	.set _Z6kernelI9histogramILN6hipcub23BlockHistogramAlgorithmE0EEiLj256ELj16ELj256ELj100EEvPKT0_PS4_.uses_flat_scratch, 0
	.set _Z6kernelI9histogramILN6hipcub23BlockHistogramAlgorithmE0EEiLj256ELj16ELj256ELj100EEvPKT0_PS4_.has_dyn_sized_stack, 0
	.set _Z6kernelI9histogramILN6hipcub23BlockHistogramAlgorithmE0EEiLj256ELj16ELj256ELj100EEvPKT0_PS4_.has_recursion, 0
	.set _Z6kernelI9histogramILN6hipcub23BlockHistogramAlgorithmE0EEiLj256ELj16ELj256ELj100EEvPKT0_PS4_.has_indirect_call, 0
	.section	.AMDGPU.csdata,"",@progbits
; Kernel info:
; codeLenInByte = 12188
; TotalNumSgprs: 104
; NumVgprs: 256
; ScratchSize: 200
; MemoryBound: 0
; FloatMode: 240
; IeeeMode: 1
; LDSByteSize: 1024 bytes/workgroup (compile time only)
; SGPRBlocks: 12
; VGPRBlocks: 63
; NumSGPRsForWavesPerEU: 104
; NumVGPRsForWavesPerEU: 256
; Occupancy: 1
; WaveLimiterHint : 0
; COMPUTE_PGM_RSRC2:SCRATCH_EN: 1
; COMPUTE_PGM_RSRC2:USER_SGPR: 6
; COMPUTE_PGM_RSRC2:TRAP_HANDLER: 0
; COMPUTE_PGM_RSRC2:TGID_X_EN: 1
; COMPUTE_PGM_RSRC2:TGID_Y_EN: 0
; COMPUTE_PGM_RSRC2:TGID_Z_EN: 0
; COMPUTE_PGM_RSRC2:TIDIG_COMP_CNT: 0
	.section	.text._Z6kernelI9histogramILN6hipcub23BlockHistogramAlgorithmE0EEiLj320ELj1ELj320ELj100EEvPKT0_PS4_,"axG",@progbits,_Z6kernelI9histogramILN6hipcub23BlockHistogramAlgorithmE0EEiLj320ELj1ELj320ELj100EEvPKT0_PS4_,comdat
	.protected	_Z6kernelI9histogramILN6hipcub23BlockHistogramAlgorithmE0EEiLj320ELj1ELj320ELj100EEvPKT0_PS4_ ; -- Begin function _Z6kernelI9histogramILN6hipcub23BlockHistogramAlgorithmE0EEiLj320ELj1ELj320ELj100EEvPKT0_PS4_
	.globl	_Z6kernelI9histogramILN6hipcub23BlockHistogramAlgorithmE0EEiLj320ELj1ELj320ELj100EEvPKT0_PS4_
	.p2align	8
	.type	_Z6kernelI9histogramILN6hipcub23BlockHistogramAlgorithmE0EEiLj320ELj1ELj320ELj100EEvPKT0_PS4_,@function
_Z6kernelI9histogramILN6hipcub23BlockHistogramAlgorithmE0EEiLj320ELj1ELj320ELj100EEvPKT0_PS4_: ; @_Z6kernelI9histogramILN6hipcub23BlockHistogramAlgorithmE0EEiLj320ELj1ELj320ELj100EEvPKT0_PS4_
; %bb.0:
	s_load_dwordx4 s[20:23], s[4:5], 0x0
	s_mulk_i32 s6, 0x140
	v_add_u32_e32 v2, s6, v0
	v_mov_b32_e32 v3, 0
	v_lshlrev_b64 v[1:2], 2, v[2:3]
	s_waitcnt lgkmcnt(0)
	v_mov_b32_e32 v5, s21
	v_add_co_u32_e32 v4, vcc, s20, v1
	v_addc_co_u32_e32 v5, vcc, v5, v2, vcc
	global_load_dword v4, v[4:5], off
	s_movk_i32 s0, 0x140
	v_mov_b32_e32 v5, v3
	v_cmp_gt_u32_e32 vcc, s0, v0
	v_mov_b32_e32 v7, v3
	v_mov_b32_e32 v9, v3
	;; [unrolled: 1-line block ×7, first 2 shown]
	s_movk_i32 s24, 0x64
	v_lshlrev_b32_e32 v0, 2, v0
	s_waitcnt vmcnt(0)
	v_lshlrev_b32_e32 v6, 30, v4
	v_and_b32_e32 v21, 1, v4
	v_cmp_gt_i64_e64 s[0:1], 0, v[5:6]
	v_add_co_u32_e64 v5, s[10:11], -1, v21
	v_lshlrev_b32_e32 v8, 29, v4
	v_lshlrev_b32_e32 v10, 28, v4
	v_lshlrev_b32_e32 v12, 27, v4
	v_lshlrev_b32_e32 v14, 26, v4
	v_lshlrev_b32_e32 v16, 25, v4
	v_lshlrev_b32_e32 v18, 24, v4
	v_lshlrev_b32_e32 v20, 23, v4
	v_not_b32_e32 v22, v6
	v_addc_co_u32_e64 v6, s[10:11], 0, -1, s[10:11]
	v_cmp_gt_i64_e64 s[2:3], 0, v[7:8]
	v_not_b32_e32 v8, v8
	v_cmp_gt_i64_e64 s[4:5], 0, v[9:10]
	v_not_b32_e32 v9, v10
	;; [unrolled: 2-line block ×4, first 2 shown]
	v_not_b32_e32 v12, v16
	v_not_b32_e32 v13, v18
	;; [unrolled: 1-line block ×3, first 2 shown]
	v_cmp_gt_i64_e64 s[12:13], 0, v[15:16]
	v_cmp_gt_i64_e64 s[14:15], 0, v[17:18]
	;; [unrolled: 1-line block ×3, first 2 shown]
	v_ashrrev_i32_e32 v7, 31, v22
	v_ashrrev_i32_e32 v8, 31, v8
	;; [unrolled: 1-line block ×8, first 2 shown]
	v_lshlrev_b32_e32 v4, 2, v4
	v_cmp_eq_u32_e64 s[6:7], 1, v21
	v_mov_b32_e32 v15, v7
	v_mov_b32_e32 v16, v8
	;; [unrolled: 1-line block ×8, first 2 shown]
	s_branch .LBB6_2
.LBB6_1:                                ;   in Loop: Header=BB6_2 Depth=1
	s_or_b64 exec, exec, s[20:21]
	s_add_i32 s24, s24, -1
	s_cmp_lg_u32 s24, 0
	s_waitcnt lgkmcnt(0)
	s_barrier
	s_cbranch_scc0 .LBB6_6
.LBB6_2:                                ; =>This Inner Loop Header: Depth=1
	s_and_saveexec_b64 s[18:19], vcc
; %bb.3:                                ;   in Loop: Header=BB6_2 Depth=1
	ds_write_b32 v0, v3
; %bb.4:                                ;   in Loop: Header=BB6_2 Depth=1
	s_or_b64 exec, exec, s[18:19]
	v_cndmask_b32_e64 v23, 0, 1, s[6:7]
	v_cmp_ne_u32_e64 s[18:19], 0, v23
	v_cndmask_b32_e64 v23, 0, 1, s[0:1]
	v_cmp_ne_u32_e64 s[20:21], 0, v23
	v_xor_b32_e32 v23, s19, v6
	v_and_b32_e32 v23, exec_hi, v23
	v_xor_b32_e32 v24, s21, v15
	v_and_b32_e32 v23, v23, v24
	v_xor_b32_e32 v24, s18, v5
	v_and_b32_e32 v24, exec_lo, v24
	v_xor_b32_e32 v25, s20, v7
	v_and_b32_e32 v24, v24, v25
	v_cndmask_b32_e64 v25, 0, 1, s[2:3]
	v_cmp_ne_u32_e64 s[18:19], 0, v25
	v_xor_b32_e32 v25, s19, v16
	v_and_b32_e32 v23, v23, v25
	v_xor_b32_e32 v25, s18, v8
	v_and_b32_e32 v24, v24, v25
	v_cndmask_b32_e64 v25, 0, 1, s[4:5]
	v_cmp_ne_u32_e64 s[18:19], 0, v25
	v_xor_b32_e32 v25, s19, v17
	v_and_b32_e32 v23, v23, v25
	;; [unrolled: 6-line block ×7, first 2 shown]
	v_xor_b32_e32 v25, s18, v14
	v_and_b32_e32 v24, v24, v25
	v_mbcnt_lo_u32_b32 v25, v24, 0
	v_mbcnt_hi_u32_b32 v25, v23, v25
	v_cmp_eq_u32_e64 s[18:19], 0, v25
	s_waitcnt lgkmcnt(0)
	s_barrier
	s_and_saveexec_b64 s[20:21], s[18:19]
	s_cbranch_execz .LBB6_1
; %bb.5:                                ;   in Loop: Header=BB6_2 Depth=1
	v_bcnt_u32_b32 v24, v24, 0
	v_bcnt_u32_b32 v23, v23, v24
	ds_add_u32 v4, v23
	s_branch .LBB6_1
.LBB6_6:
	s_and_saveexec_b64 s[0:1], vcc
	s_cbranch_execz .LBB6_8
; %bb.7:
	ds_read_b32 v4, v0
	v_mov_b32_e32 v3, s23
	v_add_co_u32_e32 v0, vcc, s22, v1
	v_addc_co_u32_e32 v1, vcc, v3, v2, vcc
	s_waitcnt lgkmcnt(0)
	global_store_dword v[0:1], v4, off
.LBB6_8:
	s_endpgm
	.section	.rodata,"a",@progbits
	.p2align	6, 0x0
	.amdhsa_kernel _Z6kernelI9histogramILN6hipcub23BlockHistogramAlgorithmE0EEiLj320ELj1ELj320ELj100EEvPKT0_PS4_
		.amdhsa_group_segment_fixed_size 1280
		.amdhsa_private_segment_fixed_size 0
		.amdhsa_kernarg_size 16
		.amdhsa_user_sgpr_count 6
		.amdhsa_user_sgpr_private_segment_buffer 1
		.amdhsa_user_sgpr_dispatch_ptr 0
		.amdhsa_user_sgpr_queue_ptr 0
		.amdhsa_user_sgpr_kernarg_segment_ptr 1
		.amdhsa_user_sgpr_dispatch_id 0
		.amdhsa_user_sgpr_flat_scratch_init 0
		.amdhsa_user_sgpr_private_segment_size 0
		.amdhsa_uses_dynamic_stack 0
		.amdhsa_system_sgpr_private_segment_wavefront_offset 0
		.amdhsa_system_sgpr_workgroup_id_x 1
		.amdhsa_system_sgpr_workgroup_id_y 0
		.amdhsa_system_sgpr_workgroup_id_z 0
		.amdhsa_system_sgpr_workgroup_info 0
		.amdhsa_system_vgpr_workitem_id 0
		.amdhsa_next_free_vgpr 26
		.amdhsa_next_free_sgpr 25
		.amdhsa_reserve_vcc 1
		.amdhsa_reserve_flat_scratch 0
		.amdhsa_float_round_mode_32 0
		.amdhsa_float_round_mode_16_64 0
		.amdhsa_float_denorm_mode_32 3
		.amdhsa_float_denorm_mode_16_64 3
		.amdhsa_dx10_clamp 1
		.amdhsa_ieee_mode 1
		.amdhsa_fp16_overflow 0
		.amdhsa_exception_fp_ieee_invalid_op 0
		.amdhsa_exception_fp_denorm_src 0
		.amdhsa_exception_fp_ieee_div_zero 0
		.amdhsa_exception_fp_ieee_overflow 0
		.amdhsa_exception_fp_ieee_underflow 0
		.amdhsa_exception_fp_ieee_inexact 0
		.amdhsa_exception_int_div_zero 0
	.end_amdhsa_kernel
	.section	.text._Z6kernelI9histogramILN6hipcub23BlockHistogramAlgorithmE0EEiLj320ELj1ELj320ELj100EEvPKT0_PS4_,"axG",@progbits,_Z6kernelI9histogramILN6hipcub23BlockHistogramAlgorithmE0EEiLj320ELj1ELj320ELj100EEvPKT0_PS4_,comdat
.Lfunc_end6:
	.size	_Z6kernelI9histogramILN6hipcub23BlockHistogramAlgorithmE0EEiLj320ELj1ELj320ELj100EEvPKT0_PS4_, .Lfunc_end6-_Z6kernelI9histogramILN6hipcub23BlockHistogramAlgorithmE0EEiLj320ELj1ELj320ELj100EEvPKT0_PS4_
                                        ; -- End function
	.set _Z6kernelI9histogramILN6hipcub23BlockHistogramAlgorithmE0EEiLj320ELj1ELj320ELj100EEvPKT0_PS4_.num_vgpr, 26
	.set _Z6kernelI9histogramILN6hipcub23BlockHistogramAlgorithmE0EEiLj320ELj1ELj320ELj100EEvPKT0_PS4_.num_agpr, 0
	.set _Z6kernelI9histogramILN6hipcub23BlockHistogramAlgorithmE0EEiLj320ELj1ELj320ELj100EEvPKT0_PS4_.numbered_sgpr, 25
	.set _Z6kernelI9histogramILN6hipcub23BlockHistogramAlgorithmE0EEiLj320ELj1ELj320ELj100EEvPKT0_PS4_.num_named_barrier, 0
	.set _Z6kernelI9histogramILN6hipcub23BlockHistogramAlgorithmE0EEiLj320ELj1ELj320ELj100EEvPKT0_PS4_.private_seg_size, 0
	.set _Z6kernelI9histogramILN6hipcub23BlockHistogramAlgorithmE0EEiLj320ELj1ELj320ELj100EEvPKT0_PS4_.uses_vcc, 1
	.set _Z6kernelI9histogramILN6hipcub23BlockHistogramAlgorithmE0EEiLj320ELj1ELj320ELj100EEvPKT0_PS4_.uses_flat_scratch, 0
	.set _Z6kernelI9histogramILN6hipcub23BlockHistogramAlgorithmE0EEiLj320ELj1ELj320ELj100EEvPKT0_PS4_.has_dyn_sized_stack, 0
	.set _Z6kernelI9histogramILN6hipcub23BlockHistogramAlgorithmE0EEiLj320ELj1ELj320ELj100EEvPKT0_PS4_.has_recursion, 0
	.set _Z6kernelI9histogramILN6hipcub23BlockHistogramAlgorithmE0EEiLj320ELj1ELj320ELj100EEvPKT0_PS4_.has_indirect_call, 0
	.section	.AMDGPU.csdata,"",@progbits
; Kernel info:
; codeLenInByte = 772
; TotalNumSgprs: 29
; NumVgprs: 26
; ScratchSize: 0
; MemoryBound: 0
; FloatMode: 240
; IeeeMode: 1
; LDSByteSize: 1280 bytes/workgroup (compile time only)
; SGPRBlocks: 3
; VGPRBlocks: 6
; NumSGPRsForWavesPerEU: 29
; NumVGPRsForWavesPerEU: 26
; Occupancy: 9
; WaveLimiterHint : 0
; COMPUTE_PGM_RSRC2:SCRATCH_EN: 0
; COMPUTE_PGM_RSRC2:USER_SGPR: 6
; COMPUTE_PGM_RSRC2:TRAP_HANDLER: 0
; COMPUTE_PGM_RSRC2:TGID_X_EN: 1
; COMPUTE_PGM_RSRC2:TGID_Y_EN: 0
; COMPUTE_PGM_RSRC2:TGID_Z_EN: 0
; COMPUTE_PGM_RSRC2:TIDIG_COMP_CNT: 0
	.section	.text._Z6kernelI9histogramILN6hipcub23BlockHistogramAlgorithmE0EEiLj320ELj2ELj320ELj100EEvPKT0_PS4_,"axG",@progbits,_Z6kernelI9histogramILN6hipcub23BlockHistogramAlgorithmE0EEiLj320ELj2ELj320ELj100EEvPKT0_PS4_,comdat
	.protected	_Z6kernelI9histogramILN6hipcub23BlockHistogramAlgorithmE0EEiLj320ELj2ELj320ELj100EEvPKT0_PS4_ ; -- Begin function _Z6kernelI9histogramILN6hipcub23BlockHistogramAlgorithmE0EEiLj320ELj2ELj320ELj100EEvPKT0_PS4_
	.globl	_Z6kernelI9histogramILN6hipcub23BlockHistogramAlgorithmE0EEiLj320ELj2ELj320ELj100EEvPKT0_PS4_
	.p2align	8
	.type	_Z6kernelI9histogramILN6hipcub23BlockHistogramAlgorithmE0EEiLj320ELj2ELj320ELj100EEvPKT0_PS4_,@function
_Z6kernelI9histogramILN6hipcub23BlockHistogramAlgorithmE0EEiLj320ELj2ELj320ELj100EEvPKT0_PS4_: ; @_Z6kernelI9histogramILN6hipcub23BlockHistogramAlgorithmE0EEiLj320ELj2ELj320ELj100EEvPKT0_PS4_
; %bb.0:
	s_load_dwordx4 s[40:43], s[4:5], 0x0
	s_mulk_i32 s6, 0x140
	v_add_u32_e32 v1, s6, v0
	v_lshlrev_b32_e32 v2, 1, v1
	v_mov_b32_e32 v3, 0
	v_lshlrev_b64 v[4:5], 2, v[2:3]
	s_waitcnt lgkmcnt(0)
	v_mov_b32_e32 v2, s41
	v_add_co_u32_e32 v4, vcc, s40, v4
	v_addc_co_u32_e32 v5, vcc, v2, v5, vcc
	global_load_dwordx2 v[4:5], v[4:5], off
	v_mov_b32_e32 v12, v3
	v_mov_b32_e32 v20, v3
	s_movk_i32 s0, 0x140
	v_mov_b32_e32 v6, v3
	v_mov_b32_e32 v8, v3
	;; [unrolled: 1-line block ×14, first 2 shown]
	v_cmp_gt_u32_e32 vcc, s0, v0
	v_lshlrev_b32_e32 v0, 2, v0
	s_movk_i32 s33, 0x64
	s_waitcnt vmcnt(0)
	v_lshlrev_b32_e32 v13, 27, v4
	v_lshlrev_b32_e32 v21, 23, v4
	v_and_b32_e32 v38, 1, v4
	v_lshlrev_b32_e32 v7, 30, v4
	v_lshlrev_b32_e32 v9, 29, v4
	;; [unrolled: 1-line block ×14, first 2 shown]
	v_cmp_gt_i64_e64 s[6:7], 0, v[12:13]
	v_cmp_gt_i64_e64 s[14:15], 0, v[20:21]
	v_not_b32_e32 v12, v21
	v_add_co_u32_e64 v21, s[38:39], -1, v38
	v_and_b32_e32 v39, 1, v5
	v_lshlrev_b32_e32 v2, 2, v4
	v_lshlrev_b32_e32 v4, 2, v5
	v_cmp_gt_i64_e64 s[0:1], 0, v[6:7]
	v_not_b32_e32 v5, v7
	v_cmp_gt_i64_e64 s[2:3], 0, v[8:9]
	v_not_b32_e32 v6, v9
	;; [unrolled: 2-line block ×3, first 2 shown]
	v_not_b32_e32 v8, v13
	v_cmp_gt_i64_e64 s[8:9], 0, v[14:15]
	v_not_b32_e32 v9, v15
	v_cmp_gt_i64_e64 s[10:11], 0, v[16:17]
	;; [unrolled: 2-line block ×4, first 2 shown]
	v_not_b32_e32 v13, v23
	v_not_b32_e32 v14, v25
	;; [unrolled: 1-line block ×8, first 2 shown]
	v_addc_co_u32_e64 v22, s[38:39], 0, -1, s[38:39]
	v_cmp_gt_i64_e64 s[18:19], 0, v[24:25]
	v_cmp_gt_i64_e64 s[20:21], 0, v[26:27]
	;; [unrolled: 1-line block ×7, first 2 shown]
	v_ashrrev_i32_e32 v5, 31, v5
	v_ashrrev_i32_e32 v6, 31, v6
	v_ashrrev_i32_e32 v7, 31, v7
	v_ashrrev_i32_e32 v8, 31, v8
	v_ashrrev_i32_e32 v9, 31, v9
	v_ashrrev_i32_e32 v10, 31, v10
	v_ashrrev_i32_e32 v11, 31, v11
	v_ashrrev_i32_e32 v12, 31, v12
	v_ashrrev_i32_e32 v13, 31, v13
	v_ashrrev_i32_e32 v14, 31, v14
	v_ashrrev_i32_e32 v15, 31, v15
	v_ashrrev_i32_e32 v16, 31, v16
	v_ashrrev_i32_e32 v17, 31, v17
	v_ashrrev_i32_e32 v18, 31, v18
	v_ashrrev_i32_e32 v19, 31, v19
	v_ashrrev_i32_e32 v20, 31, v20
	v_add_co_u32_e64 v31, s[38:39], -1, v39
	v_cmp_eq_u32_e64 s[34:35], 1, v38
	v_cmp_eq_u32_e64 s[36:37], 1, v39
	v_mov_b32_e32 v23, v5
	v_mov_b32_e32 v24, v6
	;; [unrolled: 1-line block ×8, first 2 shown]
	v_addc_co_u32_e64 v32, s[38:39], 0, -1, s[38:39]
	v_mov_b32_e32 v33, v13
	v_mov_b32_e32 v34, v14
	;; [unrolled: 1-line block ×8, first 2 shown]
	s_branch .LBB7_2
.LBB7_1:                                ;   in Loop: Header=BB7_2 Depth=1
	s_or_b64 exec, exec, s[40:41]
	s_add_i32 s33, s33, -1
	s_cmp_lg_u32 s33, 0
	s_waitcnt lgkmcnt(0)
	s_barrier
	s_cbranch_scc0 .LBB7_8
.LBB7_2:                                ; =>This Inner Loop Header: Depth=1
	s_and_saveexec_b64 s[38:39], vcc
; %bb.3:                                ;   in Loop: Header=BB7_2 Depth=1
	ds_write_b32 v0, v3
; %bb.4:                                ;   in Loop: Header=BB7_2 Depth=1
	s_or_b64 exec, exec, s[38:39]
	v_cndmask_b32_e64 v41, 0, 1, s[34:35]
	v_cmp_ne_u32_e64 s[38:39], 0, v41
	v_cndmask_b32_e64 v43, 0, 1, s[0:1]
	v_xor_b32_e32 v41, s39, v22
	v_xor_b32_e32 v42, s38, v21
	v_cmp_ne_u32_e64 s[38:39], 0, v43
	v_and_b32_e32 v41, exec_hi, v41
	v_xor_b32_e32 v43, s39, v23
	v_and_b32_e32 v41, v41, v43
	v_cndmask_b32_e64 v43, 0, 1, s[2:3]
	v_xor_b32_e32 v44, s38, v5
	v_cmp_ne_u32_e64 s[38:39], 0, v43
	v_xor_b32_e32 v43, s39, v24
	v_and_b32_e32 v42, exec_lo, v42
	v_and_b32_e32 v41, v41, v43
	v_cndmask_b32_e64 v43, 0, 1, s[4:5]
	v_and_b32_e32 v42, v42, v44
	v_xor_b32_e32 v44, s38, v6
	v_cmp_ne_u32_e64 s[38:39], 0, v43
	v_xor_b32_e32 v43, s39, v25
	v_and_b32_e32 v41, v41, v43
	v_cndmask_b32_e64 v43, 0, 1, s[6:7]
	v_and_b32_e32 v42, v42, v44
	v_xor_b32_e32 v44, s38, v7
	v_cmp_ne_u32_e64 s[38:39], 0, v43
	v_xor_b32_e32 v43, s39, v26
	;; [unrolled: 6-line block ×5, first 2 shown]
	v_and_b32_e32 v41, v41, v43
	v_cndmask_b32_e64 v43, 0, 1, s[14:15]
	v_and_b32_e32 v42, v42, v44
	v_xor_b32_e32 v44, s38, v11
	v_cmp_ne_u32_e64 s[38:39], 0, v43
	v_and_b32_e32 v42, v42, v44
	v_xor_b32_e32 v44, s38, v12
	v_xor_b32_e32 v43, s39, v30
	v_and_b32_e32 v42, v42, v44
	v_and_b32_e32 v41, v41, v43
	v_mbcnt_lo_u32_b32 v43, v42, 0
	v_mbcnt_hi_u32_b32 v43, v41, v43
	v_cmp_eq_u32_e64 s[38:39], 0, v43
	s_waitcnt lgkmcnt(0)
	s_barrier
	s_and_saveexec_b64 s[40:41], s[38:39]
; %bb.5:                                ;   in Loop: Header=BB7_2 Depth=1
	v_bcnt_u32_b32 v42, v42, 0
	v_bcnt_u32_b32 v41, v41, v42
	ds_add_u32 v2, v41
; %bb.6:                                ;   in Loop: Header=BB7_2 Depth=1
	s_or_b64 exec, exec, s[40:41]
	v_cndmask_b32_e64 v41, 0, 1, s[36:37]
	v_cmp_ne_u32_e64 s[38:39], 0, v41
	v_cndmask_b32_e64 v43, 0, 1, s[16:17]
	v_xor_b32_e32 v41, s39, v32
	v_xor_b32_e32 v42, s38, v31
	v_cmp_ne_u32_e64 s[38:39], 0, v43
	v_and_b32_e32 v41, exec_hi, v41
	v_xor_b32_e32 v43, s39, v33
	v_and_b32_e32 v41, v41, v43
	v_cndmask_b32_e64 v43, 0, 1, s[18:19]
	v_xor_b32_e32 v44, s38, v13
	v_cmp_ne_u32_e64 s[38:39], 0, v43
	v_xor_b32_e32 v43, s39, v34
	v_and_b32_e32 v42, exec_lo, v42
	v_and_b32_e32 v41, v41, v43
	v_cndmask_b32_e64 v43, 0, 1, s[20:21]
	v_and_b32_e32 v42, v42, v44
	v_xor_b32_e32 v44, s38, v14
	v_cmp_ne_u32_e64 s[38:39], 0, v43
	v_xor_b32_e32 v43, s39, v35
	v_and_b32_e32 v41, v41, v43
	v_cndmask_b32_e64 v43, 0, 1, s[22:23]
	v_and_b32_e32 v42, v42, v44
	v_xor_b32_e32 v44, s38, v15
	v_cmp_ne_u32_e64 s[38:39], 0, v43
	v_xor_b32_e32 v43, s39, v36
	;; [unrolled: 6-line block ×5, first 2 shown]
	v_and_b32_e32 v41, v41, v43
	v_cndmask_b32_e64 v43, 0, 1, s[30:31]
	v_and_b32_e32 v42, v42, v44
	v_xor_b32_e32 v44, s38, v19
	v_cmp_ne_u32_e64 s[38:39], 0, v43
	v_and_b32_e32 v42, v42, v44
	v_xor_b32_e32 v44, s38, v20
	v_xor_b32_e32 v43, s39, v40
	v_and_b32_e32 v42, v42, v44
	v_and_b32_e32 v41, v41, v43
	v_mbcnt_lo_u32_b32 v43, v42, 0
	v_mbcnt_hi_u32_b32 v43, v41, v43
	v_cmp_eq_u32_e64 s[38:39], 0, v43
	s_and_saveexec_b64 s[40:41], s[38:39]
	s_cbranch_execz .LBB7_1
; %bb.7:                                ;   in Loop: Header=BB7_2 Depth=1
	v_bcnt_u32_b32 v42, v42, 0
	v_bcnt_u32_b32 v41, v41, v42
	ds_add_u32 v4, v41
	s_branch .LBB7_1
.LBB7_8:
	s_and_saveexec_b64 s[0:1], vcc
	s_cbranch_execz .LBB7_10
; %bb.9:
	v_mov_b32_e32 v2, 0
	ds_read_b32 v4, v0
	v_lshlrev_b64 v[1:2], 2, v[1:2]
	v_mov_b32_e32 v3, s43
	v_add_co_u32_e32 v0, vcc, s42, v1
	v_addc_co_u32_e32 v1, vcc, v3, v2, vcc
	s_waitcnt lgkmcnt(0)
	global_store_dword v[0:1], v4, off
.LBB7_10:
	s_endpgm
	.section	.rodata,"a",@progbits
	.p2align	6, 0x0
	.amdhsa_kernel _Z6kernelI9histogramILN6hipcub23BlockHistogramAlgorithmE0EEiLj320ELj2ELj320ELj100EEvPKT0_PS4_
		.amdhsa_group_segment_fixed_size 1280
		.amdhsa_private_segment_fixed_size 0
		.amdhsa_kernarg_size 16
		.amdhsa_user_sgpr_count 6
		.amdhsa_user_sgpr_private_segment_buffer 1
		.amdhsa_user_sgpr_dispatch_ptr 0
		.amdhsa_user_sgpr_queue_ptr 0
		.amdhsa_user_sgpr_kernarg_segment_ptr 1
		.amdhsa_user_sgpr_dispatch_id 0
		.amdhsa_user_sgpr_flat_scratch_init 0
		.amdhsa_user_sgpr_private_segment_size 0
		.amdhsa_uses_dynamic_stack 0
		.amdhsa_system_sgpr_private_segment_wavefront_offset 0
		.amdhsa_system_sgpr_workgroup_id_x 1
		.amdhsa_system_sgpr_workgroup_id_y 0
		.amdhsa_system_sgpr_workgroup_id_z 0
		.amdhsa_system_sgpr_workgroup_info 0
		.amdhsa_system_vgpr_workitem_id 0
		.amdhsa_next_free_vgpr 45
		.amdhsa_next_free_sgpr 44
		.amdhsa_reserve_vcc 1
		.amdhsa_reserve_flat_scratch 0
		.amdhsa_float_round_mode_32 0
		.amdhsa_float_round_mode_16_64 0
		.amdhsa_float_denorm_mode_32 3
		.amdhsa_float_denorm_mode_16_64 3
		.amdhsa_dx10_clamp 1
		.amdhsa_ieee_mode 1
		.amdhsa_fp16_overflow 0
		.amdhsa_exception_fp_ieee_invalid_op 0
		.amdhsa_exception_fp_denorm_src 0
		.amdhsa_exception_fp_ieee_div_zero 0
		.amdhsa_exception_fp_ieee_overflow 0
		.amdhsa_exception_fp_ieee_underflow 0
		.amdhsa_exception_fp_ieee_inexact 0
		.amdhsa_exception_int_div_zero 0
	.end_amdhsa_kernel
	.section	.text._Z6kernelI9histogramILN6hipcub23BlockHistogramAlgorithmE0EEiLj320ELj2ELj320ELj100EEvPKT0_PS4_,"axG",@progbits,_Z6kernelI9histogramILN6hipcub23BlockHistogramAlgorithmE0EEiLj320ELj2ELj320ELj100EEvPKT0_PS4_,comdat
.Lfunc_end7:
	.size	_Z6kernelI9histogramILN6hipcub23BlockHistogramAlgorithmE0EEiLj320ELj2ELj320ELj100EEvPKT0_PS4_, .Lfunc_end7-_Z6kernelI9histogramILN6hipcub23BlockHistogramAlgorithmE0EEiLj320ELj2ELj320ELj100EEvPKT0_PS4_
                                        ; -- End function
	.set _Z6kernelI9histogramILN6hipcub23BlockHistogramAlgorithmE0EEiLj320ELj2ELj320ELj100EEvPKT0_PS4_.num_vgpr, 45
	.set _Z6kernelI9histogramILN6hipcub23BlockHistogramAlgorithmE0EEiLj320ELj2ELj320ELj100EEvPKT0_PS4_.num_agpr, 0
	.set _Z6kernelI9histogramILN6hipcub23BlockHistogramAlgorithmE0EEiLj320ELj2ELj320ELj100EEvPKT0_PS4_.numbered_sgpr, 44
	.set _Z6kernelI9histogramILN6hipcub23BlockHistogramAlgorithmE0EEiLj320ELj2ELj320ELj100EEvPKT0_PS4_.num_named_barrier, 0
	.set _Z6kernelI9histogramILN6hipcub23BlockHistogramAlgorithmE0EEiLj320ELj2ELj320ELj100EEvPKT0_PS4_.private_seg_size, 0
	.set _Z6kernelI9histogramILN6hipcub23BlockHistogramAlgorithmE0EEiLj320ELj2ELj320ELj100EEvPKT0_PS4_.uses_vcc, 1
	.set _Z6kernelI9histogramILN6hipcub23BlockHistogramAlgorithmE0EEiLj320ELj2ELj320ELj100EEvPKT0_PS4_.uses_flat_scratch, 0
	.set _Z6kernelI9histogramILN6hipcub23BlockHistogramAlgorithmE0EEiLj320ELj2ELj320ELj100EEvPKT0_PS4_.has_dyn_sized_stack, 0
	.set _Z6kernelI9histogramILN6hipcub23BlockHistogramAlgorithmE0EEiLj320ELj2ELj320ELj100EEvPKT0_PS4_.has_recursion, 0
	.set _Z6kernelI9histogramILN6hipcub23BlockHistogramAlgorithmE0EEiLj320ELj2ELj320ELj100EEvPKT0_PS4_.has_indirect_call, 0
	.section	.AMDGPU.csdata,"",@progbits
; Kernel info:
; codeLenInByte = 1388
; TotalNumSgprs: 48
; NumVgprs: 45
; ScratchSize: 0
; MemoryBound: 0
; FloatMode: 240
; IeeeMode: 1
; LDSByteSize: 1280 bytes/workgroup (compile time only)
; SGPRBlocks: 5
; VGPRBlocks: 11
; NumSGPRsForWavesPerEU: 48
; NumVGPRsForWavesPerEU: 45
; Occupancy: 5
; WaveLimiterHint : 0
; COMPUTE_PGM_RSRC2:SCRATCH_EN: 0
; COMPUTE_PGM_RSRC2:USER_SGPR: 6
; COMPUTE_PGM_RSRC2:TRAP_HANDLER: 0
; COMPUTE_PGM_RSRC2:TGID_X_EN: 1
; COMPUTE_PGM_RSRC2:TGID_Y_EN: 0
; COMPUTE_PGM_RSRC2:TGID_Z_EN: 0
; COMPUTE_PGM_RSRC2:TIDIG_COMP_CNT: 0
	.section	.text._Z6kernelI9histogramILN6hipcub23BlockHistogramAlgorithmE0EEiLj320ELj3ELj320ELj100EEvPKT0_PS4_,"axG",@progbits,_Z6kernelI9histogramILN6hipcub23BlockHistogramAlgorithmE0EEiLj320ELj3ELj320ELj100EEvPKT0_PS4_,comdat
	.protected	_Z6kernelI9histogramILN6hipcub23BlockHistogramAlgorithmE0EEiLj320ELj3ELj320ELj100EEvPKT0_PS4_ ; -- Begin function _Z6kernelI9histogramILN6hipcub23BlockHistogramAlgorithmE0EEiLj320ELj3ELj320ELj100EEvPKT0_PS4_
	.globl	_Z6kernelI9histogramILN6hipcub23BlockHistogramAlgorithmE0EEiLj320ELj3ELj320ELj100EEvPKT0_PS4_
	.p2align	8
	.type	_Z6kernelI9histogramILN6hipcub23BlockHistogramAlgorithmE0EEiLj320ELj3ELj320ELj100EEvPKT0_PS4_,@function
_Z6kernelI9histogramILN6hipcub23BlockHistogramAlgorithmE0EEiLj320ELj3ELj320ELj100EEvPKT0_PS4_: ; @_Z6kernelI9histogramILN6hipcub23BlockHistogramAlgorithmE0EEiLj320ELj3ELj320ELj100EEvPKT0_PS4_
; %bb.0:
	s_load_dwordx4 s[56:59], s[4:5], 0x0
	s_mulk_i32 s6, 0x140
	v_add_u32_e32 v1, s6, v0
	v_lshl_add_u32 v2, v1, 1, v1
	v_mov_b32_e32 v3, 0
	v_lshlrev_b64 v[4:5], 2, v[2:3]
	s_waitcnt lgkmcnt(0)
	v_mov_b32_e32 v6, s57
	v_add_co_u32_e32 v4, vcc, s56, v4
	v_addc_co_u32_e32 v5, vcc, v6, v5, vcc
	global_load_dword v4, v[4:5], off
	v_mov_b32_e32 v6, v3
	v_add_u32_e32 v5, 1, v2
	v_lshlrev_b64 v[5:6], 2, v[5:6]
	v_mov_b32_e32 v7, s57
	v_add_co_u32_e32 v5, vcc, s56, v5
	v_addc_co_u32_e32 v6, vcc, v7, v6, vcc
	v_add_u32_e32 v2, 2, v2
	global_load_dword v5, v[5:6], off
	v_lshlrev_b64 v[6:7], 2, v[2:3]
	v_mov_b32_e32 v2, s57
	v_add_co_u32_e32 v6, vcc, s56, v6
	v_addc_co_u32_e32 v7, vcc, v2, v7, vcc
	global_load_dword v2, v[6:7], off
	v_mov_b32_e32 v6, v3
	v_mov_b32_e32 v22, v3
	;; [unrolled: 1-line block ×15, first 2 shown]
	s_movk_i32 s33, 0x140
	v_cmp_gt_u32_e64 s[48:49], s33, v0
	v_lshlrev_b32_e32 v0, 2, v0
	s_movk_i32 s33, 0x64
	s_waitcnt vmcnt(2)
	v_lshlrev_b32_e32 v7, 30, v4
	v_cmp_gt_i64_e32 vcc, 0, v[6:7]
	v_not_b32_e32 v36, v7
	v_lshlrev_b32_e32 v9, 29, v4
	v_lshlrev_b32_e32 v11, 28, v4
	;; [unrolled: 1-line block ×3, first 2 shown]
	v_cmp_gt_i64_e64 s[0:1], 0, v[8:9]
	v_not_b32_e32 v8, v9
	v_cmp_gt_i64_e64 s[2:3], 0, v[10:11]
	v_not_b32_e32 v9, v11
	s_waitcnt vmcnt(1)
	v_lshlrev_b32_e32 v23, 30, v5
	v_lshlrev_b32_e32 v7, 23, v5
	v_cmp_gt_i64_e64 s[14:15], 0, v[22:23]
	v_cmp_gt_i64_e64 s[28:29], 0, v[6:7]
	v_not_b32_e32 v22, v7
	v_lshlrev_b32_e32 v25, 29, v5
	v_cmp_gt_i64_e64 s[6:7], 0, v[14:15]
	s_waitcnt vmcnt(0)
	v_lshlrev_b32_e32 v7, 30, v2
	v_not_b32_e32 v11, v15
	v_not_b32_e32 v15, v23
	v_cmp_gt_i64_e64 s[30:31], 0, v[6:7]
	v_not_b32_e32 v23, v7
	v_lshlrev_b32_e32 v7, 29, v2
	v_lshlrev_b32_e32 v17, 25, v4
	v_cmp_gt_i64_e64 s[16:17], 0, v[24:25]
	v_cmp_gt_i64_e64 s[34:35], 0, v[6:7]
	v_not_b32_e32 v24, v7
	v_lshlrev_b32_e32 v7, 28, v2
	v_lshlrev_b32_e32 v27, 28, v5
	v_cmp_gt_i64_e64 s[8:9], 0, v[16:17]
	v_not_b32_e32 v16, v25
	v_cmp_gt_i64_e64 s[36:37], 0, v[6:7]
	v_not_b32_e32 v25, v7
	v_lshlrev_b32_e32 v7, 27, v2
	v_lshlrev_b32_e32 v13, 27, v4
	v_cmp_gt_i64_e64 s[18:19], 0, v[26:27]
	v_cmp_gt_i64_e64 s[38:39], 0, v[6:7]
	v_not_b32_e32 v26, v7
	v_lshlrev_b32_e32 v7, 26, v2
	v_lshlrev_b32_e32 v29, 27, v5
	v_cmp_gt_i64_e64 s[4:5], 0, v[12:13]
	v_not_b32_e32 v12, v17
	v_not_b32_e32 v17, v27
	v_cmp_gt_i64_e64 s[40:41], 0, v[6:7]
	v_not_b32_e32 v27, v7
	v_lshlrev_b32_e32 v7, 25, v2
	v_lshlrev_b32_e32 v19, 24, v4
	v_cmp_gt_i64_e64 s[20:21], 0, v[28:29]
	v_cmp_gt_i64_e64 s[42:43], 0, v[6:7]
	v_not_b32_e32 v28, v7
	v_lshlrev_b32_e32 v7, 24, v2
	v_lshlrev_b32_e32 v21, 23, v4
	v_lshlrev_b32_e32 v31, 26, v5
	v_lshlrev_b32_e32 v33, 25, v5
	v_lshlrev_b32_e32 v35, 24, v5
	v_cmp_gt_i64_e64 s[10:11], 0, v[18:19]
	v_not_b32_e32 v18, v29
	v_cmp_gt_i64_e64 s[44:45], 0, v[6:7]
	v_not_b32_e32 v29, v7
	v_lshlrev_b32_e32 v7, 23, v2
	v_not_b32_e32 v10, v13
	v_not_b32_e32 v13, v19
	v_cmp_gt_i64_e64 s[12:13], 0, v[20:21]
	v_not_b32_e32 v14, v21
	v_cmp_gt_i64_e64 s[22:23], 0, v[30:31]
	v_not_b32_e32 v19, v31
	v_not_b32_e32 v20, v33
	;; [unrolled: 1-line block ×4, first 2 shown]
	v_and_b32_e32 v31, 1, v4
	v_cmp_gt_i64_e64 s[46:47], 0, v[6:7]
	v_ashrrev_i32_e32 v7, 31, v8
	v_ashrrev_i32_e32 v8, 31, v9
	v_ashrrev_i32_e32 v9, 31, v10
	v_ashrrev_i32_e32 v10, 31, v11
	v_ashrrev_i32_e32 v11, 31, v12
	v_ashrrev_i32_e32 v12, 31, v13
	v_ashrrev_i32_e32 v13, 31, v14
	v_ashrrev_i32_e32 v14, 31, v15
	v_ashrrev_i32_e32 v15, 31, v16
	v_ashrrev_i32_e32 v16, 31, v17
	v_ashrrev_i32_e32 v17, 31, v18
	v_ashrrev_i32_e32 v18, 31, v19
	v_ashrrev_i32_e32 v19, 31, v20
	v_ashrrev_i32_e32 v20, 31, v21
	v_ashrrev_i32_e32 v21, 31, v22
	v_ashrrev_i32_e32 v22, 31, v23
	v_ashrrev_i32_e32 v23, 31, v24
	v_ashrrev_i32_e32 v24, 31, v25
	v_ashrrev_i32_e32 v25, 31, v26
	v_ashrrev_i32_e32 v26, 31, v27
	v_ashrrev_i32_e32 v27, 31, v28
	v_ashrrev_i32_e32 v28, 31, v29
	v_ashrrev_i32_e32 v29, 31, v30
	v_add_co_u32_e64 v30, s[56:57], -1, v31
	v_cmp_eq_u32_e64 s[50:51], 1, v31
	v_and_b32_e32 v40, 1, v5
	v_addc_co_u32_e64 v31, s[56:57], 0, -1, s[56:57]
	v_cmp_eq_u32_e64 s[52:53], 1, v40
	v_add_co_u32_e64 v40, s[56:57], -1, v40
	v_and_b32_e32 v50, 1, v2
	v_addc_co_u32_e64 v41, s[56:57], 0, -1, s[56:57]
	v_cmp_gt_i64_e64 s[24:25], 0, v[32:33]
	v_cmp_gt_i64_e64 s[26:27], 0, v[34:35]
	v_ashrrev_i32_e32 v6, 31, v36
	v_cmp_eq_u32_e64 s[54:55], 1, v50
	v_add_co_u32_e64 v50, s[56:57], -1, v50
	v_lshlrev_b32_e32 v4, 2, v4
	v_lshlrev_b32_e32 v5, 2, v5
	v_lshlrev_b32_e32 v2, 2, v2
	v_mov_b32_e32 v32, v6
	v_mov_b32_e32 v33, v7
	;; [unrolled: 1-line block ×16, first 2 shown]
	v_addc_co_u32_e64 v51, s[56:57], 0, -1, s[56:57]
	v_mov_b32_e32 v52, v22
	v_mov_b32_e32 v53, v23
	;; [unrolled: 1-line block ×8, first 2 shown]
	s_branch .LBB8_2
.LBB8_1:                                ;   in Loop: Header=BB8_2 Depth=1
	s_or_b64 exec, exec, s[60:61]
	s_add_i32 s33, s33, -1
	s_cmp_lg_u32 s33, 0
	s_waitcnt lgkmcnt(0)
	s_barrier
	s_cbranch_scc0 .LBB8_10
.LBB8_2:                                ; =>This Inner Loop Header: Depth=1
	s_and_saveexec_b64 s[56:57], s[48:49]
; %bb.3:                                ;   in Loop: Header=BB8_2 Depth=1
	ds_write_b32 v0, v3
; %bb.4:                                ;   in Loop: Header=BB8_2 Depth=1
	s_or_b64 exec, exec, s[56:57]
	v_cndmask_b32_e64 v60, 0, 1, s[50:51]
	v_cmp_ne_u32_e64 s[56:57], 0, v60
	v_cndmask_b32_e64 v62, 0, 1, vcc
	v_xor_b32_e32 v60, s57, v31
	v_xor_b32_e32 v61, s56, v30
	v_cmp_ne_u32_e64 s[56:57], 0, v62
	v_and_b32_e32 v60, exec_hi, v60
	v_xor_b32_e32 v62, s57, v32
	v_and_b32_e32 v60, v60, v62
	v_cndmask_b32_e64 v62, 0, 1, s[0:1]
	v_xor_b32_e32 v63, s56, v6
	v_cmp_ne_u32_e64 s[56:57], 0, v62
	v_xor_b32_e32 v62, s57, v33
	v_and_b32_e32 v61, exec_lo, v61
	v_and_b32_e32 v60, v60, v62
	v_cndmask_b32_e64 v62, 0, 1, s[2:3]
	v_and_b32_e32 v61, v61, v63
	v_xor_b32_e32 v63, s56, v7
	v_cmp_ne_u32_e64 s[56:57], 0, v62
	v_xor_b32_e32 v62, s57, v34
	v_and_b32_e32 v60, v60, v62
	v_cndmask_b32_e64 v62, 0, 1, s[4:5]
	v_and_b32_e32 v61, v61, v63
	v_xor_b32_e32 v63, s56, v8
	v_cmp_ne_u32_e64 s[56:57], 0, v62
	v_xor_b32_e32 v62, s57, v35
	;; [unrolled: 6-line block ×5, first 2 shown]
	v_and_b32_e32 v60, v60, v62
	v_cndmask_b32_e64 v62, 0, 1, s[12:13]
	v_and_b32_e32 v61, v61, v63
	v_xor_b32_e32 v63, s56, v12
	v_cmp_ne_u32_e64 s[56:57], 0, v62
	v_and_b32_e32 v61, v61, v63
	v_xor_b32_e32 v63, s56, v13
	v_xor_b32_e32 v62, s57, v39
	v_and_b32_e32 v61, v61, v63
	v_and_b32_e32 v60, v60, v62
	v_mbcnt_lo_u32_b32 v62, v61, 0
	v_mbcnt_hi_u32_b32 v62, v60, v62
	v_cmp_eq_u32_e64 s[56:57], 0, v62
	s_waitcnt lgkmcnt(0)
	s_barrier
	s_and_saveexec_b64 s[60:61], s[56:57]
; %bb.5:                                ;   in Loop: Header=BB8_2 Depth=1
	v_bcnt_u32_b32 v61, v61, 0
	v_bcnt_u32_b32 v60, v60, v61
	ds_add_u32 v4, v60
; %bb.6:                                ;   in Loop: Header=BB8_2 Depth=1
	s_or_b64 exec, exec, s[60:61]
	v_cndmask_b32_e64 v60, 0, 1, s[52:53]
	v_cmp_ne_u32_e64 s[56:57], 0, v60
	v_cndmask_b32_e64 v62, 0, 1, s[14:15]
	v_xor_b32_e32 v60, s57, v41
	v_xor_b32_e32 v61, s56, v40
	v_cmp_ne_u32_e64 s[56:57], 0, v62
	v_and_b32_e32 v60, exec_hi, v60
	v_xor_b32_e32 v62, s57, v42
	v_and_b32_e32 v60, v60, v62
	v_cndmask_b32_e64 v62, 0, 1, s[16:17]
	v_xor_b32_e32 v63, s56, v14
	v_cmp_ne_u32_e64 s[56:57], 0, v62
	v_xor_b32_e32 v62, s57, v43
	v_and_b32_e32 v61, exec_lo, v61
	v_and_b32_e32 v60, v60, v62
	v_cndmask_b32_e64 v62, 0, 1, s[18:19]
	v_and_b32_e32 v61, v61, v63
	v_xor_b32_e32 v63, s56, v15
	v_cmp_ne_u32_e64 s[56:57], 0, v62
	v_xor_b32_e32 v62, s57, v44
	v_and_b32_e32 v60, v60, v62
	v_cndmask_b32_e64 v62, 0, 1, s[20:21]
	v_and_b32_e32 v61, v61, v63
	v_xor_b32_e32 v63, s56, v16
	v_cmp_ne_u32_e64 s[56:57], 0, v62
	v_xor_b32_e32 v62, s57, v45
	;; [unrolled: 6-line block ×5, first 2 shown]
	v_and_b32_e32 v60, v60, v62
	v_cndmask_b32_e64 v62, 0, 1, s[28:29]
	v_and_b32_e32 v61, v61, v63
	v_xor_b32_e32 v63, s56, v20
	v_cmp_ne_u32_e64 s[56:57], 0, v62
	v_and_b32_e32 v61, v61, v63
	v_xor_b32_e32 v63, s56, v21
	v_xor_b32_e32 v62, s57, v49
	v_and_b32_e32 v61, v61, v63
	v_and_b32_e32 v60, v60, v62
	v_mbcnt_lo_u32_b32 v62, v61, 0
	v_mbcnt_hi_u32_b32 v62, v60, v62
	v_cmp_eq_u32_e64 s[56:57], 0, v62
	s_and_saveexec_b64 s[60:61], s[56:57]
; %bb.7:                                ;   in Loop: Header=BB8_2 Depth=1
	v_bcnt_u32_b32 v61, v61, 0
	v_bcnt_u32_b32 v60, v60, v61
	ds_add_u32 v5, v60
; %bb.8:                                ;   in Loop: Header=BB8_2 Depth=1
	s_or_b64 exec, exec, s[60:61]
	v_cndmask_b32_e64 v60, 0, 1, s[54:55]
	v_cmp_ne_u32_e64 s[56:57], 0, v60
	v_cndmask_b32_e64 v62, 0, 1, s[30:31]
	v_xor_b32_e32 v60, s57, v51
	v_xor_b32_e32 v61, s56, v50
	v_cmp_ne_u32_e64 s[56:57], 0, v62
	v_and_b32_e32 v60, exec_hi, v60
	v_xor_b32_e32 v62, s57, v52
	v_and_b32_e32 v60, v60, v62
	v_cndmask_b32_e64 v62, 0, 1, s[34:35]
	v_xor_b32_e32 v63, s56, v22
	v_cmp_ne_u32_e64 s[56:57], 0, v62
	v_xor_b32_e32 v62, s57, v53
	v_and_b32_e32 v61, exec_lo, v61
	v_and_b32_e32 v60, v60, v62
	v_cndmask_b32_e64 v62, 0, 1, s[36:37]
	v_and_b32_e32 v61, v61, v63
	v_xor_b32_e32 v63, s56, v23
	v_cmp_ne_u32_e64 s[56:57], 0, v62
	v_xor_b32_e32 v62, s57, v54
	v_and_b32_e32 v60, v60, v62
	v_cndmask_b32_e64 v62, 0, 1, s[38:39]
	v_and_b32_e32 v61, v61, v63
	v_xor_b32_e32 v63, s56, v24
	v_cmp_ne_u32_e64 s[56:57], 0, v62
	v_xor_b32_e32 v62, s57, v55
	;; [unrolled: 6-line block ×5, first 2 shown]
	v_and_b32_e32 v60, v60, v62
	v_cndmask_b32_e64 v62, 0, 1, s[46:47]
	v_and_b32_e32 v61, v61, v63
	v_xor_b32_e32 v63, s56, v28
	v_cmp_ne_u32_e64 s[56:57], 0, v62
	v_and_b32_e32 v61, v61, v63
	v_xor_b32_e32 v63, s56, v29
	v_xor_b32_e32 v62, s57, v59
	v_and_b32_e32 v61, v61, v63
	v_and_b32_e32 v60, v60, v62
	v_mbcnt_lo_u32_b32 v62, v61, 0
	v_mbcnt_hi_u32_b32 v62, v60, v62
	v_cmp_eq_u32_e64 s[56:57], 0, v62
	s_and_saveexec_b64 s[60:61], s[56:57]
	s_cbranch_execz .LBB8_1
; %bb.9:                                ;   in Loop: Header=BB8_2 Depth=1
	v_bcnt_u32_b32 v61, v61, 0
	v_bcnt_u32_b32 v60, v60, v61
	ds_add_u32 v2, v60
	s_branch .LBB8_1
.LBB8_10:
	s_and_saveexec_b64 s[0:1], s[48:49]
	s_cbranch_execz .LBB8_12
; %bb.11:
	v_mov_b32_e32 v2, 0
	ds_read_b32 v4, v0
	v_lshlrev_b64 v[1:2], 2, v[1:2]
	v_mov_b32_e32 v3, s59
	v_add_co_u32_e32 v0, vcc, s58, v1
	v_addc_co_u32_e32 v1, vcc, v3, v2, vcc
	s_waitcnt lgkmcnt(0)
	global_store_dword v[0:1], v4, off
.LBB8_12:
	s_endpgm
	.section	.rodata,"a",@progbits
	.p2align	6, 0x0
	.amdhsa_kernel _Z6kernelI9histogramILN6hipcub23BlockHistogramAlgorithmE0EEiLj320ELj3ELj320ELj100EEvPKT0_PS4_
		.amdhsa_group_segment_fixed_size 1280
		.amdhsa_private_segment_fixed_size 0
		.amdhsa_kernarg_size 16
		.amdhsa_user_sgpr_count 6
		.amdhsa_user_sgpr_private_segment_buffer 1
		.amdhsa_user_sgpr_dispatch_ptr 0
		.amdhsa_user_sgpr_queue_ptr 0
		.amdhsa_user_sgpr_kernarg_segment_ptr 1
		.amdhsa_user_sgpr_dispatch_id 0
		.amdhsa_user_sgpr_flat_scratch_init 0
		.amdhsa_user_sgpr_private_segment_size 0
		.amdhsa_uses_dynamic_stack 0
		.amdhsa_system_sgpr_private_segment_wavefront_offset 0
		.amdhsa_system_sgpr_workgroup_id_x 1
		.amdhsa_system_sgpr_workgroup_id_y 0
		.amdhsa_system_sgpr_workgroup_id_z 0
		.amdhsa_system_sgpr_workgroup_info 0
		.amdhsa_system_vgpr_workitem_id 0
		.amdhsa_next_free_vgpr 64
		.amdhsa_next_free_sgpr 62
		.amdhsa_reserve_vcc 1
		.amdhsa_reserve_flat_scratch 0
		.amdhsa_float_round_mode_32 0
		.amdhsa_float_round_mode_16_64 0
		.amdhsa_float_denorm_mode_32 3
		.amdhsa_float_denorm_mode_16_64 3
		.amdhsa_dx10_clamp 1
		.amdhsa_ieee_mode 1
		.amdhsa_fp16_overflow 0
		.amdhsa_exception_fp_ieee_invalid_op 0
		.amdhsa_exception_fp_denorm_src 0
		.amdhsa_exception_fp_ieee_div_zero 0
		.amdhsa_exception_fp_ieee_overflow 0
		.amdhsa_exception_fp_ieee_underflow 0
		.amdhsa_exception_fp_ieee_inexact 0
		.amdhsa_exception_int_div_zero 0
	.end_amdhsa_kernel
	.section	.text._Z6kernelI9histogramILN6hipcub23BlockHistogramAlgorithmE0EEiLj320ELj3ELj320ELj100EEvPKT0_PS4_,"axG",@progbits,_Z6kernelI9histogramILN6hipcub23BlockHistogramAlgorithmE0EEiLj320ELj3ELj320ELj100EEvPKT0_PS4_,comdat
.Lfunc_end8:
	.size	_Z6kernelI9histogramILN6hipcub23BlockHistogramAlgorithmE0EEiLj320ELj3ELj320ELj100EEvPKT0_PS4_, .Lfunc_end8-_Z6kernelI9histogramILN6hipcub23BlockHistogramAlgorithmE0EEiLj320ELj3ELj320ELj100EEvPKT0_PS4_
                                        ; -- End function
	.set _Z6kernelI9histogramILN6hipcub23BlockHistogramAlgorithmE0EEiLj320ELj3ELj320ELj100EEvPKT0_PS4_.num_vgpr, 64
	.set _Z6kernelI9histogramILN6hipcub23BlockHistogramAlgorithmE0EEiLj320ELj3ELj320ELj100EEvPKT0_PS4_.num_agpr, 0
	.set _Z6kernelI9histogramILN6hipcub23BlockHistogramAlgorithmE0EEiLj320ELj3ELj320ELj100EEvPKT0_PS4_.numbered_sgpr, 62
	.set _Z6kernelI9histogramILN6hipcub23BlockHistogramAlgorithmE0EEiLj320ELj3ELj320ELj100EEvPKT0_PS4_.num_named_barrier, 0
	.set _Z6kernelI9histogramILN6hipcub23BlockHistogramAlgorithmE0EEiLj320ELj3ELj320ELj100EEvPKT0_PS4_.private_seg_size, 0
	.set _Z6kernelI9histogramILN6hipcub23BlockHistogramAlgorithmE0EEiLj320ELj3ELj320ELj100EEvPKT0_PS4_.uses_vcc, 1
	.set _Z6kernelI9histogramILN6hipcub23BlockHistogramAlgorithmE0EEiLj320ELj3ELj320ELj100EEvPKT0_PS4_.uses_flat_scratch, 0
	.set _Z6kernelI9histogramILN6hipcub23BlockHistogramAlgorithmE0EEiLj320ELj3ELj320ELj100EEvPKT0_PS4_.has_dyn_sized_stack, 0
	.set _Z6kernelI9histogramILN6hipcub23BlockHistogramAlgorithmE0EEiLj320ELj3ELj320ELj100EEvPKT0_PS4_.has_recursion, 0
	.set _Z6kernelI9histogramILN6hipcub23BlockHistogramAlgorithmE0EEiLj320ELj3ELj320ELj100EEvPKT0_PS4_.has_indirect_call, 0
	.section	.AMDGPU.csdata,"",@progbits
; Kernel info:
; codeLenInByte = 2032
; TotalNumSgprs: 66
; NumVgprs: 64
; ScratchSize: 0
; MemoryBound: 0
; FloatMode: 240
; IeeeMode: 1
; LDSByteSize: 1280 bytes/workgroup (compile time only)
; SGPRBlocks: 8
; VGPRBlocks: 15
; NumSGPRsForWavesPerEU: 66
; NumVGPRsForWavesPerEU: 64
; Occupancy: 4
; WaveLimiterHint : 0
; COMPUTE_PGM_RSRC2:SCRATCH_EN: 0
; COMPUTE_PGM_RSRC2:USER_SGPR: 6
; COMPUTE_PGM_RSRC2:TRAP_HANDLER: 0
; COMPUTE_PGM_RSRC2:TGID_X_EN: 1
; COMPUTE_PGM_RSRC2:TGID_Y_EN: 0
; COMPUTE_PGM_RSRC2:TGID_Z_EN: 0
; COMPUTE_PGM_RSRC2:TIDIG_COMP_CNT: 0
	.section	.text._Z6kernelI9histogramILN6hipcub23BlockHistogramAlgorithmE0EEiLj320ELj4ELj320ELj100EEvPKT0_PS4_,"axG",@progbits,_Z6kernelI9histogramILN6hipcub23BlockHistogramAlgorithmE0EEiLj320ELj4ELj320ELj100EEvPKT0_PS4_,comdat
	.protected	_Z6kernelI9histogramILN6hipcub23BlockHistogramAlgorithmE0EEiLj320ELj4ELj320ELj100EEvPKT0_PS4_ ; -- Begin function _Z6kernelI9histogramILN6hipcub23BlockHistogramAlgorithmE0EEiLj320ELj4ELj320ELj100EEvPKT0_PS4_
	.globl	_Z6kernelI9histogramILN6hipcub23BlockHistogramAlgorithmE0EEiLj320ELj4ELj320ELj100EEvPKT0_PS4_
	.p2align	8
	.type	_Z6kernelI9histogramILN6hipcub23BlockHistogramAlgorithmE0EEiLj320ELj4ELj320ELj100EEvPKT0_PS4_,@function
_Z6kernelI9histogramILN6hipcub23BlockHistogramAlgorithmE0EEiLj320ELj4ELj320ELj100EEvPKT0_PS4_: ; @_Z6kernelI9histogramILN6hipcub23BlockHistogramAlgorithmE0EEiLj320ELj4ELj320ELj100EEvPKT0_PS4_
; %bb.0:
	s_load_dwordx4 s[76:79], s[4:5], 0x0
	s_mulk_i32 s6, 0x140
	v_add_u32_e32 v5, s6, v0
	v_lshlrev_b32_e32 v6, 2, v5
	v_mov_b32_e32 v7, 0
	v_lshlrev_b64 v[1:2], 2, v[6:7]
	s_waitcnt lgkmcnt(0)
	v_mov_b32_e32 v3, s77
	v_add_co_u32_e32 v1, vcc, s76, v1
	v_addc_co_u32_e32 v2, vcc, v3, v2, vcc
	global_load_dwordx4 v[1:4], v[1:2], off
	v_mov_b32_e32 v13, v7
	v_mov_b32_e32 v15, v7
	;; [unrolled: 1-line block ×12, first 2 shown]
	s_movk_i32 s33, 0x140
	v_cmp_gt_u32_e64 s[64:65], s33, v0
	v_lshlrev_b32_e32 v0, 2, v0
	s_movk_i32 s33, 0x64
	s_waitcnt vmcnt(0)
	v_lshlrev_b32_e32 v14, 29, v1
	v_lshlrev_b32_e32 v16, 28, v1
	;; [unrolled: 1-line block ×6, first 2 shown]
	v_cmp_gt_i64_e64 s[0:1], 0, v[13:14]
	v_cmp_gt_i64_e64 s[2:3], 0, v[15:16]
	v_not_b32_e32 v13, v16
	v_cmp_gt_i64_e64 s[8:9], 0, v[21:22]
	v_not_b32_e32 v16, v22
	;; [unrolled: 2-line block ×3, first 2 shown]
	v_mov_b32_e32 v34, v7
	v_lshlrev_b32_e32 v18, 27, v1
	v_lshlrev_b32_e32 v36, 25, v2
	v_cmp_gt_i64_e64 s[10:11], 0, v[23:24]
	v_cmp_gt_i64_e64 s[22:23], 0, v[34:35]
	v_not_b32_e32 v23, v35
	v_mov_b32_e32 v35, v7
	v_lshlrev_b32_e32 v26, 23, v1
	v_lshlrev_b32_e32 v37, 24, v2
	v_cmp_gt_i64_e64 s[4:5], 0, v[17:18]
	v_not_b32_e32 v17, v24
	v_cmp_gt_i64_e64 s[24:25], 0, v[35:36]
	v_not_b32_e32 v24, v36
	v_mov_b32_e32 v36, v7
	v_lshlrev_b32_e32 v28, 30, v2
	v_lshlrev_b32_e32 v38, 30, v3
	v_cmp_gt_i64_e64 s[12:13], 0, v[25:26]
	v_cmp_gt_i64_e64 s[26:27], 0, v[36:37]
	v_not_b32_e32 v25, v37
	v_mov_b32_e32 v37, v7
	v_lshlrev_b32_e32 v20, 26, v1
	v_lshlrev_b32_e32 v39, 29, v3
	v_cmp_gt_i64_e64 s[14:15], 0, v[27:28]
	;; [unrolled: 6-line block ×3, first 2 shown]
	v_not_b32_e32 v19, v28
	v_cmp_gt_i64_e64 s[34:35], 0, v[38:39]
	v_not_b32_e32 v28, v39
	v_mov_b32_e32 v39, v7
	v_lshlrev_b32_e32 v41, 27, v3
	v_cmp_gt_i64_e64 s[16:17], 0, v[29:30]
	v_cmp_gt_i64_e64 s[36:37], 0, v[39:40]
	v_not_b32_e32 v29, v40
	v_mov_b32_e32 v40, v7
	v_lshlrev_b32_e32 v32, 28, v2
	v_lshlrev_b32_e32 v42, 26, v3
	v_not_b32_e32 v15, v20
	v_not_b32_e32 v20, v30
	v_cmp_gt_i64_e64 s[38:39], 0, v[40:41]
	v_not_b32_e32 v30, v41
	v_mov_b32_e32 v41, v7
	v_lshlrev_b32_e32 v43, 25, v3
	v_cmp_gt_i64_e64 s[18:19], 0, v[31:32]
	v_cmp_gt_i64_e64 s[40:41], 0, v[41:42]
	v_not_b32_e32 v31, v42
	v_mov_b32_e32 v42, v7
	v_lshlrev_b32_e32 v44, 24, v3
	v_not_b32_e32 v21, v32
	v_cmp_gt_i64_e64 s[42:43], 0, v[42:43]
	v_not_b32_e32 v32, v43
	v_mov_b32_e32 v43, v7
	v_lshlrev_b32_e32 v45, 30, v4
	v_cmp_gt_i64_e64 s[44:45], 0, v[43:44]
	v_not_b32_e32 v33, v44
	v_mov_b32_e32 v44, v7
	v_lshlrev_b32_e32 v46, 29, v4
	;; [unrolled: 4-line block ×3, first 2 shown]
	v_lshlrev_b32_e32 v47, 28, v4
	v_cmp_gt_i64_e64 s[50:51], 0, v[45:46]
	v_not_b32_e32 v36, v46
	v_mov_b32_e32 v46, v7
	v_and_b32_e32 v52, 1, v1
	v_and_b32_e32 v53, 1, v2
	v_lshlrev_b32_e32 v6, 2, v1
	v_lshlrev_b32_e32 v8, 2, v2
	;; [unrolled: 1-line block ×4, first 2 shown]
	v_cmp_gt_i64_e32 vcc, 0, v[11:12]
	v_not_b32_e32 v11, v12
	v_mov_b32_e32 v1, v7
	v_cmp_gt_i64_e64 s[52:53], 0, v[46:47]
	v_not_b32_e32 v37, v47
	v_mov_b32_e32 v47, v7
	v_and_b32_e32 v59, 1, v3
	v_lshlrev_b32_e32 v9, 2, v3
	v_lshlrev_b32_e32 v3, 23, v3
	;; [unrolled: 1-line block ×3, first 2 shown]
	v_not_b32_e32 v12, v14
	v_not_b32_e32 v14, v18
	;; [unrolled: 1-line block ×3, first 2 shown]
	v_cmp_gt_i64_e64 s[28:29], 0, v[1:2]
	v_not_b32_e32 v26, v2
	v_mov_b32_e32 v2, v7
	v_cmp_gt_i64_e64 s[54:55], 0, v[47:48]
	v_not_b32_e32 v38, v48
	v_mov_b32_e32 v48, v7
	v_ashrrev_i32_e32 v1, 31, v11
	v_ashrrev_i32_e32 v11, 31, v15
	;; [unrolled: 1-line block ×6, first 2 shown]
	v_add_co_u32_e64 v31, s[74:75], -1, v52
	v_lshlrev_b32_e32 v50, 25, v4
	v_cmp_gt_i64_e64 s[46:47], 0, v[2:3]
	v_cmp_gt_i64_e64 s[56:57], 0, v[48:49]
	v_not_b32_e32 v39, v49
	v_mov_b32_e32 v49, v7
	v_ashrrev_i32_e32 v2, 31, v12
	v_ashrrev_i32_e32 v12, 31, v16
	;; [unrolled: 1-line block ×6, first 2 shown]
	v_addc_co_u32_e64 v32, s[74:75], 0, -1, s[74:75]
	v_lshlrev_b32_e32 v51, 24, v4
	v_cmp_gt_i64_e64 s[58:59], 0, v[49:50]
	v_not_b32_e32 v40, v50
	v_mov_b32_e32 v50, v7
	v_add_co_u32_e64 v49, s[74:75], -1, v53
	v_cmp_gt_i64_e64 s[60:61], 0, v[50:51]
	v_addc_co_u32_e64 v50, s[74:75], 0, -1, s[74:75]
	v_and_b32_e32 v69, 1, v4
	v_lshlrev_b32_e32 v10, 2, v4
	v_lshlrev_b32_e32 v4, 23, v4
	v_cmp_eq_u32_e64 s[70:71], 1, v59
	v_add_co_u32_e64 v59, s[74:75], -1, v59
	v_not_b32_e32 v34, v3
	v_not_b32_e32 v41, v51
	v_mov_b32_e32 v3, v7
	v_not_b32_e32 v42, v4
	v_addc_co_u32_e64 v60, s[74:75], 0, -1, s[74:75]
	v_cmp_gt_i64_e64 s[62:63], 0, v[3:4]
	v_ashrrev_i32_e32 v3, 31, v13
	v_ashrrev_i32_e32 v4, 31, v14
	;; [unrolled: 1-line block ×12, first 2 shown]
	v_cmp_eq_u32_e64 s[72:73], 1, v69
	v_ashrrev_i32_e32 v33, 31, v35
	v_ashrrev_i32_e32 v34, 31, v36
	;; [unrolled: 1-line block ×8, first 2 shown]
	v_add_co_u32_e64 v69, s[74:75], -1, v69
	v_cmp_eq_u32_e64 s[66:67], 1, v52
	v_cmp_eq_u32_e64 s[68:69], 1, v53
	v_mov_b32_e32 v41, v1
	v_mov_b32_e32 v42, v2
	;; [unrolled: 1-line block ×24, first 2 shown]
	v_addc_co_u32_e64 v70, s[74:75], 0, -1, s[74:75]
	v_mov_b32_e32 v71, v33
	v_mov_b32_e32 v72, v34
	;; [unrolled: 1-line block ×8, first 2 shown]
	s_branch .LBB9_2
.LBB9_1:                                ;   in Loop: Header=BB9_2 Depth=1
	s_or_b64 exec, exec, s[76:77]
	s_add_i32 s33, s33, -1
	s_cmp_lg_u32 s33, 0
	s_waitcnt lgkmcnt(0)
	s_barrier
	s_cbranch_scc0 .LBB9_12
.LBB9_2:                                ; =>This Inner Loop Header: Depth=1
	s_and_saveexec_b64 s[74:75], s[64:65]
; %bb.3:                                ;   in Loop: Header=BB9_2 Depth=1
	ds_write_b32 v0, v7
; %bb.4:                                ;   in Loop: Header=BB9_2 Depth=1
	s_or_b64 exec, exec, s[74:75]
	v_cndmask_b32_e64 v79, 0, 1, s[66:67]
	v_cmp_ne_u32_e64 s[74:75], 0, v79
	v_cndmask_b32_e64 v81, 0, 1, vcc
	v_xor_b32_e32 v79, s75, v32
	v_xor_b32_e32 v80, s74, v31
	v_cmp_ne_u32_e64 s[74:75], 0, v81
	v_and_b32_e32 v79, exec_hi, v79
	v_xor_b32_e32 v81, s75, v41
	v_and_b32_e32 v79, v79, v81
	v_cndmask_b32_e64 v81, 0, 1, s[0:1]
	v_xor_b32_e32 v82, s74, v1
	v_cmp_ne_u32_e64 s[74:75], 0, v81
	v_xor_b32_e32 v81, s75, v42
	v_and_b32_e32 v80, exec_lo, v80
	v_and_b32_e32 v79, v79, v81
	v_cndmask_b32_e64 v81, 0, 1, s[2:3]
	v_and_b32_e32 v80, v80, v82
	v_xor_b32_e32 v82, s74, v2
	v_cmp_ne_u32_e64 s[74:75], 0, v81
	v_xor_b32_e32 v81, s75, v43
	v_and_b32_e32 v79, v79, v81
	v_cndmask_b32_e64 v81, 0, 1, s[4:5]
	v_and_b32_e32 v80, v80, v82
	v_xor_b32_e32 v82, s74, v3
	v_cmp_ne_u32_e64 s[74:75], 0, v81
	v_xor_b32_e32 v81, s75, v44
	;; [unrolled: 6-line block ×5, first 2 shown]
	v_and_b32_e32 v79, v79, v81
	v_cndmask_b32_e64 v81, 0, 1, s[12:13]
	v_and_b32_e32 v80, v80, v82
	v_xor_b32_e32 v82, s74, v13
	v_cmp_ne_u32_e64 s[74:75], 0, v81
	v_and_b32_e32 v80, v80, v82
	v_xor_b32_e32 v82, s74, v14
	v_xor_b32_e32 v81, s75, v48
	v_and_b32_e32 v80, v80, v82
	v_and_b32_e32 v79, v79, v81
	v_mbcnt_lo_u32_b32 v81, v80, 0
	v_mbcnt_hi_u32_b32 v81, v79, v81
	v_cmp_eq_u32_e64 s[74:75], 0, v81
	s_waitcnt lgkmcnt(0)
	s_barrier
	s_and_saveexec_b64 s[76:77], s[74:75]
; %bb.5:                                ;   in Loop: Header=BB9_2 Depth=1
	v_bcnt_u32_b32 v80, v80, 0
	v_bcnt_u32_b32 v79, v79, v80
	ds_add_u32 v6, v79
; %bb.6:                                ;   in Loop: Header=BB9_2 Depth=1
	s_or_b64 exec, exec, s[76:77]
	v_cndmask_b32_e64 v79, 0, 1, s[68:69]
	v_cmp_ne_u32_e64 s[74:75], 0, v79
	v_cndmask_b32_e64 v81, 0, 1, s[14:15]
	v_xor_b32_e32 v79, s75, v50
	v_xor_b32_e32 v80, s74, v49
	v_cmp_ne_u32_e64 s[74:75], 0, v81
	v_and_b32_e32 v79, exec_hi, v79
	v_xor_b32_e32 v81, s75, v51
	v_and_b32_e32 v79, v79, v81
	v_cndmask_b32_e64 v81, 0, 1, s[16:17]
	v_xor_b32_e32 v82, s74, v15
	v_cmp_ne_u32_e64 s[74:75], 0, v81
	v_xor_b32_e32 v81, s75, v52
	v_and_b32_e32 v80, exec_lo, v80
	v_and_b32_e32 v79, v79, v81
	v_cndmask_b32_e64 v81, 0, 1, s[18:19]
	v_and_b32_e32 v80, v80, v82
	v_xor_b32_e32 v82, s74, v16
	v_cmp_ne_u32_e64 s[74:75], 0, v81
	v_xor_b32_e32 v81, s75, v53
	v_and_b32_e32 v79, v79, v81
	v_cndmask_b32_e64 v81, 0, 1, s[20:21]
	v_and_b32_e32 v80, v80, v82
	v_xor_b32_e32 v82, s74, v17
	v_cmp_ne_u32_e64 s[74:75], 0, v81
	v_xor_b32_e32 v81, s75, v54
	;; [unrolled: 6-line block ×5, first 2 shown]
	v_and_b32_e32 v79, v79, v81
	v_cndmask_b32_e64 v81, 0, 1, s[28:29]
	v_and_b32_e32 v80, v80, v82
	v_xor_b32_e32 v82, s74, v21
	v_cmp_ne_u32_e64 s[74:75], 0, v81
	v_and_b32_e32 v80, v80, v82
	v_xor_b32_e32 v82, s74, v22
	v_xor_b32_e32 v81, s75, v58
	v_and_b32_e32 v80, v80, v82
	v_and_b32_e32 v79, v79, v81
	v_mbcnt_lo_u32_b32 v81, v80, 0
	v_mbcnt_hi_u32_b32 v81, v79, v81
	v_cmp_eq_u32_e64 s[74:75], 0, v81
	s_and_saveexec_b64 s[76:77], s[74:75]
; %bb.7:                                ;   in Loop: Header=BB9_2 Depth=1
	v_bcnt_u32_b32 v80, v80, 0
	v_bcnt_u32_b32 v79, v79, v80
	ds_add_u32 v8, v79
; %bb.8:                                ;   in Loop: Header=BB9_2 Depth=1
	s_or_b64 exec, exec, s[76:77]
	v_cndmask_b32_e64 v79, 0, 1, s[70:71]
	v_cmp_ne_u32_e64 s[74:75], 0, v79
	v_cndmask_b32_e64 v81, 0, 1, s[30:31]
	v_xor_b32_e32 v79, s75, v60
	v_xor_b32_e32 v80, s74, v59
	v_cmp_ne_u32_e64 s[74:75], 0, v81
	v_and_b32_e32 v79, exec_hi, v79
	v_xor_b32_e32 v81, s75, v61
	v_and_b32_e32 v79, v79, v81
	v_cndmask_b32_e64 v81, 0, 1, s[34:35]
	v_xor_b32_e32 v82, s74, v23
	v_cmp_ne_u32_e64 s[74:75], 0, v81
	v_xor_b32_e32 v81, s75, v62
	v_and_b32_e32 v80, exec_lo, v80
	v_and_b32_e32 v79, v79, v81
	v_cndmask_b32_e64 v81, 0, 1, s[36:37]
	v_and_b32_e32 v80, v80, v82
	v_xor_b32_e32 v82, s74, v24
	v_cmp_ne_u32_e64 s[74:75], 0, v81
	v_xor_b32_e32 v81, s75, v63
	v_and_b32_e32 v79, v79, v81
	v_cndmask_b32_e64 v81, 0, 1, s[38:39]
	v_and_b32_e32 v80, v80, v82
	v_xor_b32_e32 v82, s74, v25
	v_cmp_ne_u32_e64 s[74:75], 0, v81
	v_xor_b32_e32 v81, s75, v64
	v_and_b32_e32 v79, v79, v81
	v_cndmask_b32_e64 v81, 0, 1, s[40:41]
	v_and_b32_e32 v80, v80, v82
	v_xor_b32_e32 v82, s74, v26
	v_cmp_ne_u32_e64 s[74:75], 0, v81
	v_xor_b32_e32 v81, s75, v65
	v_and_b32_e32 v79, v79, v81
	v_cndmask_b32_e64 v81, 0, 1, s[42:43]
	v_and_b32_e32 v80, v80, v82
	v_xor_b32_e32 v82, s74, v27
	v_cmp_ne_u32_e64 s[74:75], 0, v81
	v_xor_b32_e32 v81, s75, v66
	v_and_b32_e32 v79, v79, v81
	v_cndmask_b32_e64 v81, 0, 1, s[44:45]
	v_and_b32_e32 v80, v80, v82
	v_xor_b32_e32 v82, s74, v28
	v_cmp_ne_u32_e64 s[74:75], 0, v81
	v_xor_b32_e32 v81, s75, v67
	v_and_b32_e32 v79, v79, v81
	v_cndmask_b32_e64 v81, 0, 1, s[46:47]
	v_and_b32_e32 v80, v80, v82
	v_xor_b32_e32 v82, s74, v29
	v_cmp_ne_u32_e64 s[74:75], 0, v81
	v_and_b32_e32 v80, v80, v82
	v_xor_b32_e32 v82, s74, v30
	v_xor_b32_e32 v81, s75, v68
	v_and_b32_e32 v80, v80, v82
	v_and_b32_e32 v79, v79, v81
	v_mbcnt_lo_u32_b32 v81, v80, 0
	v_mbcnt_hi_u32_b32 v81, v79, v81
	v_cmp_eq_u32_e64 s[74:75], 0, v81
	s_and_saveexec_b64 s[76:77], s[74:75]
; %bb.9:                                ;   in Loop: Header=BB9_2 Depth=1
	v_bcnt_u32_b32 v80, v80, 0
	v_bcnt_u32_b32 v79, v79, v80
	ds_add_u32 v9, v79
; %bb.10:                               ;   in Loop: Header=BB9_2 Depth=1
	s_or_b64 exec, exec, s[76:77]
	v_cndmask_b32_e64 v79, 0, 1, s[72:73]
	v_cmp_ne_u32_e64 s[74:75], 0, v79
	v_cndmask_b32_e64 v81, 0, 1, s[48:49]
	v_xor_b32_e32 v79, s75, v70
	v_xor_b32_e32 v80, s74, v69
	v_cmp_ne_u32_e64 s[74:75], 0, v81
	v_and_b32_e32 v79, exec_hi, v79
	v_xor_b32_e32 v81, s75, v71
	v_and_b32_e32 v79, v79, v81
	v_cndmask_b32_e64 v81, 0, 1, s[50:51]
	v_xor_b32_e32 v82, s74, v33
	v_cmp_ne_u32_e64 s[74:75], 0, v81
	v_xor_b32_e32 v81, s75, v72
	v_and_b32_e32 v80, exec_lo, v80
	v_and_b32_e32 v79, v79, v81
	v_cndmask_b32_e64 v81, 0, 1, s[52:53]
	v_and_b32_e32 v80, v80, v82
	v_xor_b32_e32 v82, s74, v34
	v_cmp_ne_u32_e64 s[74:75], 0, v81
	v_xor_b32_e32 v81, s75, v73
	v_and_b32_e32 v79, v79, v81
	v_cndmask_b32_e64 v81, 0, 1, s[54:55]
	v_and_b32_e32 v80, v80, v82
	v_xor_b32_e32 v82, s74, v35
	v_cmp_ne_u32_e64 s[74:75], 0, v81
	v_xor_b32_e32 v81, s75, v74
	;; [unrolled: 6-line block ×5, first 2 shown]
	v_and_b32_e32 v79, v79, v81
	v_cndmask_b32_e64 v81, 0, 1, s[62:63]
	v_and_b32_e32 v80, v80, v82
	v_xor_b32_e32 v82, s74, v39
	v_cmp_ne_u32_e64 s[74:75], 0, v81
	v_and_b32_e32 v80, v80, v82
	v_xor_b32_e32 v82, s74, v40
	v_xor_b32_e32 v81, s75, v78
	v_and_b32_e32 v80, v80, v82
	v_and_b32_e32 v79, v79, v81
	v_mbcnt_lo_u32_b32 v81, v80, 0
	v_mbcnt_hi_u32_b32 v81, v79, v81
	v_cmp_eq_u32_e64 s[74:75], 0, v81
	s_and_saveexec_b64 s[76:77], s[74:75]
	s_cbranch_execz .LBB9_1
; %bb.11:                               ;   in Loop: Header=BB9_2 Depth=1
	v_bcnt_u32_b32 v80, v80, 0
	v_bcnt_u32_b32 v79, v79, v80
	ds_add_u32 v10, v79
	s_branch .LBB9_1
.LBB9_12:
	s_and_saveexec_b64 s[0:1], s[64:65]
	s_cbranch_execz .LBB9_14
; %bb.13:
	v_mov_b32_e32 v6, 0
	ds_read_b32 v4, v0
	v_lshlrev_b64 v[1:2], 2, v[5:6]
	v_mov_b32_e32 v3, s79
	v_add_co_u32_e32 v0, vcc, s78, v1
	v_addc_co_u32_e32 v1, vcc, v3, v2, vcc
	s_waitcnt lgkmcnt(0)
	global_store_dword v[0:1], v4, off
.LBB9_14:
	s_endpgm
	.section	.rodata,"a",@progbits
	.p2align	6, 0x0
	.amdhsa_kernel _Z6kernelI9histogramILN6hipcub23BlockHistogramAlgorithmE0EEiLj320ELj4ELj320ELj100EEvPKT0_PS4_
		.amdhsa_group_segment_fixed_size 1280
		.amdhsa_private_segment_fixed_size 0
		.amdhsa_kernarg_size 16
		.amdhsa_user_sgpr_count 6
		.amdhsa_user_sgpr_private_segment_buffer 1
		.amdhsa_user_sgpr_dispatch_ptr 0
		.amdhsa_user_sgpr_queue_ptr 0
		.amdhsa_user_sgpr_kernarg_segment_ptr 1
		.amdhsa_user_sgpr_dispatch_id 0
		.amdhsa_user_sgpr_flat_scratch_init 0
		.amdhsa_user_sgpr_private_segment_size 0
		.amdhsa_uses_dynamic_stack 0
		.amdhsa_system_sgpr_private_segment_wavefront_offset 0
		.amdhsa_system_sgpr_workgroup_id_x 1
		.amdhsa_system_sgpr_workgroup_id_y 0
		.amdhsa_system_sgpr_workgroup_id_z 0
		.amdhsa_system_sgpr_workgroup_info 0
		.amdhsa_system_vgpr_workitem_id 0
		.amdhsa_next_free_vgpr 83
		.amdhsa_next_free_sgpr 80
		.amdhsa_reserve_vcc 1
		.amdhsa_reserve_flat_scratch 0
		.amdhsa_float_round_mode_32 0
		.amdhsa_float_round_mode_16_64 0
		.amdhsa_float_denorm_mode_32 3
		.amdhsa_float_denorm_mode_16_64 3
		.amdhsa_dx10_clamp 1
		.amdhsa_ieee_mode 1
		.amdhsa_fp16_overflow 0
		.amdhsa_exception_fp_ieee_invalid_op 0
		.amdhsa_exception_fp_denorm_src 0
		.amdhsa_exception_fp_ieee_div_zero 0
		.amdhsa_exception_fp_ieee_overflow 0
		.amdhsa_exception_fp_ieee_underflow 0
		.amdhsa_exception_fp_ieee_inexact 0
		.amdhsa_exception_int_div_zero 0
	.end_amdhsa_kernel
	.section	.text._Z6kernelI9histogramILN6hipcub23BlockHistogramAlgorithmE0EEiLj320ELj4ELj320ELj100EEvPKT0_PS4_,"axG",@progbits,_Z6kernelI9histogramILN6hipcub23BlockHistogramAlgorithmE0EEiLj320ELj4ELj320ELj100EEvPKT0_PS4_,comdat
.Lfunc_end9:
	.size	_Z6kernelI9histogramILN6hipcub23BlockHistogramAlgorithmE0EEiLj320ELj4ELj320ELj100EEvPKT0_PS4_, .Lfunc_end9-_Z6kernelI9histogramILN6hipcub23BlockHistogramAlgorithmE0EEiLj320ELj4ELj320ELj100EEvPKT0_PS4_
                                        ; -- End function
	.set _Z6kernelI9histogramILN6hipcub23BlockHistogramAlgorithmE0EEiLj320ELj4ELj320ELj100EEvPKT0_PS4_.num_vgpr, 83
	.set _Z6kernelI9histogramILN6hipcub23BlockHistogramAlgorithmE0EEiLj320ELj4ELj320ELj100EEvPKT0_PS4_.num_agpr, 0
	.set _Z6kernelI9histogramILN6hipcub23BlockHistogramAlgorithmE0EEiLj320ELj4ELj320ELj100EEvPKT0_PS4_.numbered_sgpr, 80
	.set _Z6kernelI9histogramILN6hipcub23BlockHistogramAlgorithmE0EEiLj320ELj4ELj320ELj100EEvPKT0_PS4_.num_named_barrier, 0
	.set _Z6kernelI9histogramILN6hipcub23BlockHistogramAlgorithmE0EEiLj320ELj4ELj320ELj100EEvPKT0_PS4_.private_seg_size, 0
	.set _Z6kernelI9histogramILN6hipcub23BlockHistogramAlgorithmE0EEiLj320ELj4ELj320ELj100EEvPKT0_PS4_.uses_vcc, 1
	.set _Z6kernelI9histogramILN6hipcub23BlockHistogramAlgorithmE0EEiLj320ELj4ELj320ELj100EEvPKT0_PS4_.uses_flat_scratch, 0
	.set _Z6kernelI9histogramILN6hipcub23BlockHistogramAlgorithmE0EEiLj320ELj4ELj320ELj100EEvPKT0_PS4_.has_dyn_sized_stack, 0
	.set _Z6kernelI9histogramILN6hipcub23BlockHistogramAlgorithmE0EEiLj320ELj4ELj320ELj100EEvPKT0_PS4_.has_recursion, 0
	.set _Z6kernelI9histogramILN6hipcub23BlockHistogramAlgorithmE0EEiLj320ELj4ELj320ELj100EEvPKT0_PS4_.has_indirect_call, 0
	.section	.AMDGPU.csdata,"",@progbits
; Kernel info:
; codeLenInByte = 2588
; TotalNumSgprs: 84
; NumVgprs: 83
; ScratchSize: 0
; MemoryBound: 0
; FloatMode: 240
; IeeeMode: 1
; LDSByteSize: 1280 bytes/workgroup (compile time only)
; SGPRBlocks: 10
; VGPRBlocks: 20
; NumSGPRsForWavesPerEU: 84
; NumVGPRsForWavesPerEU: 83
; Occupancy: 3
; WaveLimiterHint : 0
; COMPUTE_PGM_RSRC2:SCRATCH_EN: 0
; COMPUTE_PGM_RSRC2:USER_SGPR: 6
; COMPUTE_PGM_RSRC2:TRAP_HANDLER: 0
; COMPUTE_PGM_RSRC2:TGID_X_EN: 1
; COMPUTE_PGM_RSRC2:TGID_Y_EN: 0
; COMPUTE_PGM_RSRC2:TGID_Z_EN: 0
; COMPUTE_PGM_RSRC2:TIDIG_COMP_CNT: 0
	.section	.text._Z6kernelI9histogramILN6hipcub23BlockHistogramAlgorithmE0EEiLj320ELj8ELj320ELj100EEvPKT0_PS4_,"axG",@progbits,_Z6kernelI9histogramILN6hipcub23BlockHistogramAlgorithmE0EEiLj320ELj8ELj320ELj100EEvPKT0_PS4_,comdat
	.protected	_Z6kernelI9histogramILN6hipcub23BlockHistogramAlgorithmE0EEiLj320ELj8ELj320ELj100EEvPKT0_PS4_ ; -- Begin function _Z6kernelI9histogramILN6hipcub23BlockHistogramAlgorithmE0EEiLj320ELj8ELj320ELj100EEvPKT0_PS4_
	.globl	_Z6kernelI9histogramILN6hipcub23BlockHistogramAlgorithmE0EEiLj320ELj8ELj320ELj100EEvPKT0_PS4_
	.p2align	8
	.type	_Z6kernelI9histogramILN6hipcub23BlockHistogramAlgorithmE0EEiLj320ELj8ELj320ELj100EEvPKT0_PS4_,@function
_Z6kernelI9histogramILN6hipcub23BlockHistogramAlgorithmE0EEiLj320ELj8ELj320ELj100EEvPKT0_PS4_: ; @_Z6kernelI9histogramILN6hipcub23BlockHistogramAlgorithmE0EEiLj320ELj8ELj320ELj100EEvPKT0_PS4_
; %bb.0:
	s_mov_b64 s[98:99], s[2:3]
	s_mov_b64 s[96:97], s[0:1]
	s_add_u32 s96, s96, s7
	s_mulk_i32 s6, 0x140
	s_addc_u32 s97, s97, 0
	v_add_u32_e32 v1, s6, v0
	buffer_store_dword v0, off, s[96:99], 0 offset:100 ; 4-byte Folded Spill
	v_mov_b32_e32 v0, v1
	buffer_store_dword v0, off, s[96:99], 0 offset:140 ; 4-byte Folded Spill
	s_nop 0
	buffer_store_dword v1, off, s[96:99], 0 offset:144 ; 4-byte Folded Spill
	s_load_dwordx4 s[0:3], s[4:5], 0x0
	v_mov_b32_e32 v7, 0
                                        ; implicit-def: $vgpr127 : SGPR spill to VGPR lane
	v_mov_b32_e32 v5, v7
	v_mov_b32_e32 v54, v7
	;; [unrolled: 1-line block ×3, first 2 shown]
	s_waitcnt lgkmcnt(0)
	v_mov_b32_e32 v2, s1
	v_writelane_b32 v127, s0, 0
	v_writelane_b32 v127, s1, 1
	v_writelane_b32 v127, s2, 2
	v_writelane_b32 v127, s3, 3
	v_mov_b32_e32 v46, v7
	v_mov_b32_e32 v48, v7
	;; [unrolled: 1-line block ×5, first 2 shown]
	s_movk_i32 s33, 0x140
	v_lshlrev_b32_e32 v6, 3, v1
	v_lshlrev_b64 v[0:1], 2, v[6:7]
	v_add_co_u32_e32 v8, vcc, s0, v0
	v_addc_co_u32_e32 v9, vcc, v2, v1, vcc
	global_load_dwordx4 v[1:4], v[8:9], off
	global_load_dwordx4 v[11:14], v[8:9], off offset:16
	s_waitcnt vmcnt(1)
	v_lshlrev_b32_e32 v0, 2, v1
	buffer_store_dword v0, off, s[96:99], 0 offset:104 ; 4-byte Folded Spill
	v_lshlrev_b32_e32 v0, 2, v2
	buffer_store_dword v0, off, s[96:99], 0 offset:108 ; 4-byte Folded Spill
	;; [unrolled: 2-line block ×4, first 2 shown]
	s_waitcnt vmcnt(4)
	v_lshlrev_b32_e32 v0, 2, v11
	buffer_store_dword v0, off, s[96:99], 0 offset:120 ; 4-byte Folded Spill
	v_lshlrev_b32_e32 v0, 2, v12
	buffer_store_dword v0, off, s[96:99], 0 offset:124 ; 4-byte Folded Spill
	v_lshlrev_b32_e32 v0, 2, v13
	v_and_b32_e32 v96, 1, v1
	v_lshlrev_b32_e32 v6, 30, v1
	v_lshlrev_b32_e32 v55, 29, v1
	v_lshlrev_b32_e32 v56, 28, v1
	v_lshlrev_b32_e32 v57, 27, v1
	v_lshlrev_b32_e32 v58, 26, v1
	v_lshlrev_b32_e32 v59, 25, v1
	v_lshlrev_b32_e32 v60, 24, v1
	v_lshlrev_b32_e32 v61, 23, v1
	buffer_store_dword v0, off, s[96:99], 0 offset:128 ; 4-byte Folded Spill
	v_lshlrev_b32_e32 v0, 2, v14
	v_lshlrev_b32_e32 v1, 25, v14
	buffer_store_dword v0, off, s[96:99], 0 offset:132 ; 4-byte Folded Spill
	buffer_store_dword v0, off, s[96:99], 0 offset:80 ; 4-byte Folded Spill
	s_nop 0
	buffer_store_dword v1, off, s[96:99], 0 offset:84 ; 4-byte Folded Spill
	v_lshlrev_b32_e32 v1, 24, v14
	v_cmp_gt_i64_e64 s[0:1], 0, v[5:6]
	v_and_b32_e32 v29, 1, v3
	v_writelane_b32 v127, s0, 4
	v_writelane_b32 v127, s1, 5
	v_cmp_gt_i64_e64 s[0:1], 0, v[54:55]
	v_lshlrev_b32_e32 v70, 30, v3
	v_writelane_b32 v127, s0, 6
	v_writelane_b32 v127, s1, 7
	v_lshlrev_b32_e32 v71, 29, v3
	v_lshlrev_b32_e32 v72, 28, v3
	v_lshlrev_b32_e32 v73, 27, v3
	v_lshlrev_b32_e32 v74, 26, v3
	v_lshlrev_b32_e32 v75, 25, v3
	v_lshlrev_b32_e32 v76, 24, v3
	v_lshlrev_b32_e32 v77, 23, v3
	v_not_b32_e32 v3, v56
	v_not_b32_e32 v5, v57
	v_and_b32_e32 v38, 1, v2
	v_lshlrev_b32_e32 v62, 30, v2
	v_lshlrev_b32_e32 v63, 29, v2
	;; [unrolled: 1-line block ×8, first 2 shown]
	v_not_b32_e32 v2, v58
	v_not_b32_e32 v8, v59
	;; [unrolled: 1-line block ×3, first 2 shown]
	v_and_b32_e32 v98, 1, v11
	v_and_b32_e32 v100, 1, v12
	v_lshlrev_b32_e32 v86, 30, v11
	v_lshlrev_b32_e32 v87, 29, v11
	v_lshlrev_b32_e32 v88, 28, v11
	v_lshlrev_b32_e32 v89, 27, v11
	v_lshlrev_b32_e32 v90, 26, v11
	v_lshlrev_b32_e32 v91, 25, v11
	v_lshlrev_b32_e32 v92, 24, v11
	v_lshlrev_b32_e32 v53, 23, v11
	v_lshlrev_b32_e32 v51, 30, v12
	v_lshlrev_b32_e32 v49, 29, v12
	v_lshlrev_b32_e32 v47, 28, v12
	v_lshlrev_b32_e32 v45, 27, v12
	v_lshlrev_b32_e32 v43, 26, v12
	v_lshlrev_b32_e32 v41, 25, v12
	v_lshlrev_b32_e32 v39, 24, v12
	v_lshlrev_b32_e32 v11, 23, v12
	v_not_b32_e32 v12, v61
	v_and_b32_e32 v42, 1, v13
	v_and_b32_e32 v40, 1, v14
	v_lshlrev_b32_e32 v35, 30, v13
	v_lshlrev_b32_e32 v33, 29, v13
	;; [unrolled: 1-line block ×4, first 2 shown]
	buffer_store_dword v0, off, s[96:99], 0 offset:72 ; 4-byte Folded Spill
	s_nop 0
	buffer_store_dword v1, off, s[96:99], 0 offset:76 ; 4-byte Folded Spill
	v_lshlrev_b32_e32 v1, 23, v14
	v_lshlrev_b32_e32 v27, 26, v13
	;; [unrolled: 1-line block ×10, first 2 shown]
	v_not_b32_e32 v14, v62
	v_not_b32_e32 v16, v63
	;; [unrolled: 1-line block ×11, first 2 shown]
	v_and_b32_e32 v9, 1, v4
	v_lshlrev_b32_e32 v78, 30, v4
	v_lshlrev_b32_e32 v79, 29, v4
	;; [unrolled: 1-line block ×8, first 2 shown]
	v_not_b32_e32 v4, v73
	v_not_b32_e32 v94, v74
	v_add_co_u32_e32 v36, vcc, -1, v96
	v_cmp_gt_i64_e64 s[78:79], 0, v[52:53]
	v_not_b32_e32 v52, v53
	v_ashrrev_i32_e32 v110, 31, v5
	v_ashrrev_i32_e32 v5, 31, v52
	v_mov_b32_e32 v54, v29
	v_cmp_gt_i64_e64 s[84:85], 0, v[46:47]
	v_ashrrev_i32_e32 v111, 31, v2
	v_cmp_gt_i64_e64 s[82:83], 0, v[48:49]
	v_not_b32_e32 v48, v47
	v_ashrrev_i32_e32 v47, 31, v3
	v_ashrrev_i32_e32 v114, 31, v12
	;; [unrolled: 1-line block ×3, first 2 shown]
	v_mov_b32_e32 v20, v7
	v_mov_b32_e32 v12, v7
	v_not_b32_e32 v53, v43
	v_cmp_gt_i64_e64 s[14:15], 0, v[20:21]
	v_cmp_gt_i64_e64 s[22:23], 0, v[12:13]
	v_ashrrev_i32_e32 v125, 31, v28
	v_cmp_gt_i64_e64 s[94:95], 0, v[10:11]
	v_mov_b32_e32 v10, v125
	v_ashrrev_i32_e32 v112, 31, v8
	buffer_store_dword v0, off, s[96:99], 0 offset:64 ; 4-byte Folded Spill
	s_nop 0
	buffer_store_dword v1, off, s[96:99], 0 offset:68 ; 4-byte Folded Spill
	v_not_b32_e32 v1, v55
	v_mov_b32_e32 v55, v7
	v_cmp_gt_i64_e64 s[0:1], 0, v[55:56]
	v_mov_b32_e32 v56, v7
	v_writelane_b32 v127, s0, 8
	v_writelane_b32 v127, s1, 9
	v_cmp_gt_i64_e64 s[0:1], 0, v[56:57]
	v_mov_b32_e32 v57, v7
	v_writelane_b32 v127, s0, 10
	v_writelane_b32 v127, s1, 11
	;; [unrolled: 4-line block ×19, first 2 shown]
	v_cmp_gt_i64_e64 s[0:1], 0, v[74:75]
	v_not_b32_e32 v56, v75
	v_writelane_b32 v127, s0, 46
	v_mov_b32_e32 v75, v7
	v_writelane_b32 v127, s1, 47
	v_cmp_gt_i64_e64 s[0:1], 0, v[75:76]
	v_not_b32_e32 v57, v76
	v_writelane_b32 v127, s0, 48
	v_mov_b32_e32 v76, v7
	v_writelane_b32 v127, s1, 49
	;; [unrolled: 5-line block ×5, first 2 shown]
	v_cmp_gt_i64_e64 s[0:1], 0, v[79:80]
	buffer_store_dword v36, off, s[96:99], 0 ; 4-byte Folded Spill
	v_writelane_b32 v127, s0, 56
	v_writelane_b32 v127, s1, 57
	v_addc_co_u32_e64 v36, s[0:1], 0, -1, vcc
	buffer_store_dword v36, off, s[96:99], 0 offset:4 ; 4-byte Folded Spill
	v_add_co_u32_e32 v36, vcc, -1, v38
	buffer_store_dword v36, off, s[96:99], 0 offset:8 ; 4-byte Folded Spill
	v_addc_co_u32_e64 v36, s[0:1], 0, -1, vcc
	buffer_store_dword v36, off, s[96:99], 0 offset:12 ; 4-byte Folded Spill
	v_add_co_u32_e32 v36, vcc, -1, v29
	buffer_store_dword v36, off, s[96:99], 0 offset:16 ; 4-byte Folded Spill
	;; [unrolled: 4-line block ×6, first 2 shown]
	v_addc_co_u32_e64 v36, s[0:1], 0, -1, vcc
	v_mov_b32_e32 v72, v40
	buffer_store_dword v36, off, s[96:99], 0 offset:52 ; 4-byte Folded Spill
	v_add_co_u32_e32 v36, vcc, -1, v72
	buffer_store_dword v36, off, s[96:99], 0 offset:56 ; 4-byte Folded Spill
	v_addc_co_u32_e64 v36, s[0:1], 0, -1, vcc
	v_not_b32_e32 v61, v80
	buffer_store_dword v36, off, s[96:99], 0 offset:60 ; 4-byte Folded Spill
	buffer_store_dword v5, off, s[96:99], 0 offset:136 ; 4-byte Folded Spill
	v_ashrrev_i32_e32 v46, 31, v1
	v_ashrrev_i32_e32 v1, 31, v56
	;; [unrolled: 1-line block ×7, first 2 shown]
	buffer_load_dword v60, off, s[96:99], 0 offset:80 ; 4-byte Folded Reload
	buffer_load_dword v61, off, s[96:99], 0 offset:84 ; 4-byte Folded Reload
	;; [unrolled: 1-line block ×6, first 2 shown]
	v_mov_b32_e32 v80, v7
	v_cmp_gt_i64_e64 s[54:55], 0, v[80:81]
	v_not_b32_e32 v62, v81
	v_mov_b32_e32 v81, v7
	v_cmp_gt_i64_e64 s[56:57], 0, v[81:82]
	v_not_b32_e32 v63, v82
	v_mov_b32_e32 v82, v7
	v_not_b32_e32 v0, v6
	v_cmp_gt_i64_e64 s[58:59], 0, v[82:83]
	v_not_b32_e32 v64, v83
	v_mov_b32_e32 v83, v7
	v_cmp_gt_i64_e64 s[60:61], 0, v[83:84]
	v_not_b32_e32 v65, v84
	v_mov_b32_e32 v84, v7
	v_not_b32_e32 v67, v86
	v_mov_b32_e32 v73, v42
	v_mov_b32_e32 v42, v7
	v_ashrrev_i32_e32 v0, 31, v0
	v_cmp_gt_i64_e64 s[62:63], 0, v[84:85]
	v_not_b32_e32 v66, v85
	v_mov_b32_e32 v85, v7
	v_not_b32_e32 v69, v88
	v_cmp_gt_i64_e64 s[88:89], 0, v[42:43]
	v_ashrrev_i32_e32 v102, 31, v67
	v_not_b32_e32 v43, v35
	buffer_store_dword v0, off, s[96:99], 0 offset:64 ; 4-byte Folded Spill
	buffer_store_dword v0, off, s[96:99], 0 offset:88 ; 4-byte Folded Spill
	buffer_store_dword v46, off, s[96:99], 0 offset:72 ; 4-byte Folded Spill
	buffer_store_dword v46, off, s[96:99], 0 offset:92 ; 4-byte Folded Spill
	buffer_store_dword v47, off, s[96:99], 0 offset:80 ; 4-byte Folded Spill
	buffer_store_dword v47, off, s[96:99], 0 offset:96 ; 4-byte Folded Spill
	v_not_b32_e32 v67, v21
	v_not_b32_e32 v21, v13
	v_cmp_gt_i64_e64 s[64:65], 0, v[85:86]
	v_mov_b32_e32 v86, v7
	v_ashrrev_i32_e32 v106, 31, v63
	v_ashrrev_i32_e32 v104, 31, v69
	;; [unrolled: 1-line block ×3, first 2 shown]
	v_cmp_gt_i64_e64 s[66:67], 0, v[86:87]
	v_mov_b32_e32 v86, v125
	v_cmp_eq_u32_e64 s[48:49], 1, v72
	v_mov_b32_e32 v72, v104
	v_mov_b32_e32 v125, v104
	buffer_load_dword v104, off, s[96:99], 0 offset:136 ; 4-byte Folded Reload
	v_not_b32_e32 v68, v87
	v_mov_b32_e32 v87, v7
	v_cmp_gt_i64_e64 s[68:69], 0, v[87:88]
	v_mov_b32_e32 v88, v7
	v_cmp_gt_i64_e64 s[70:71], 0, v[88:89]
	v_not_b32_e32 v70, v89
	v_mov_b32_e32 v89, v7
	v_cmp_gt_i64_e64 s[72:73], 0, v[89:90]
	v_not_b32_e32 v74, v90
	v_mov_b32_e32 v90, v7
	s_waitcnt vmcnt(8)
	v_mov_b32_e32 v56, v7
	v_cmp_gt_i64_e64 s[74:75], 0, v[90:91]
	v_not_b32_e32 v71, v91
	v_mov_b32_e32 v91, v7
	v_mov_b32_e32 v55, v38
	;; [unrolled: 1-line block ×5, first 2 shown]
	v_ashrrev_i32_e32 v118, 31, v14
	v_ashrrev_i32_e32 v119, 31, v16
	;; [unrolled: 1-line block ×9, first 2 shown]
	v_mov_b32_e32 v34, v7
	v_mov_b32_e32 v32, v7
	;; [unrolled: 1-line block ×9, first 2 shown]
	v_cmp_gt_i64_e64 s[76:77], 0, v[91:92]
	v_not_b32_e32 v75, v92
	s_waitcnt vmcnt(7)
	v_not_b32_e32 v13, v57
	v_ashrrev_i32_e32 v43, 31, v13
	buffer_load_dword v13, off, s[96:99], 0 offset:100 ; 4-byte Folded Reload
	v_mov_b32_e32 v46, v56
	v_cmp_gt_i64_e64 s[80:81], 0, v[50:51]
	v_not_b32_e32 v50, v51
	v_not_b32_e32 v51, v49
	;; [unrolled: 1-line block ×6, first 2 shown]
	v_ashrrev_i32_e32 v113, 31, v37
	v_ashrrev_i32_e32 v3, 31, v4
	;; [unrolled: 1-line block ×3, first 2 shown]
	v_mov_b32_e32 v92, v7
	v_mov_b32_e32 v94, v7
	v_mov_b32_e32 v60, v7
	v_mov_b32_e32 v58, v7
	v_cmp_gt_i64_e64 s[90:91], 0, v[40:41]
	v_not_b32_e32 v41, v33
	v_cmp_gt_i64_e64 s[92:93], 0, v[38:39]
	v_not_b32_e32 v39, v31
	v_not_b32_e32 v37, v93
	v_cmp_gt_i64_e64 s[0:1], 0, v[34:35]
	v_not_b32_e32 v35, v27
	v_cmp_gt_i64_e64 s[2:3], 0, v[32:33]
	;; [unrolled: 2-line block ×9, first 2 shown]
	v_not_b32_e32 v15, v59
	v_mov_b32_e32 v47, v57
	v_cmp_gt_i64_e64 s[86:87], 0, v[44:45]
	v_ashrrev_i32_e32 v109, 31, v62
	v_ashrrev_i32_e32 v44, 31, v64
	;; [unrolled: 1-line block ×9, first 2 shown]
	v_cmp_gt_i64_e64 s[6:7], 0, v[92:93]
	v_cmp_gt_i64_e64 s[24:25], 0, v[94:95]
	;; [unrolled: 1-line block ×4, first 2 shown]
	v_ashrrev_i32_e32 v56, 31, v50
	v_ashrrev_i32_e32 v57, 31, v51
	;; [unrolled: 1-line block ×8, first 2 shown]
	v_cmp_gt_i64_e64 s[30:31], 0, v[46:47]
	v_ashrrev_i32_e32 v64, 31, v41
	v_ashrrev_i32_e32 v65, 31, v39
	;; [unrolled: 1-line block ×14, first 2 shown]
	v_mov_b32_e32 v74, v110
	v_mov_b32_e32 v34, v110
	;; [unrolled: 1-line block ×3, first 2 shown]
	s_waitcnt vmcnt(0)
	v_lshlrev_b32_e32 v5, 2, v13
	v_mov_b32_e32 v32, v111
	v_mov_b32_e32 v76, v112
	;; [unrolled: 1-line block ×29, first 2 shown]
	v_cmp_eq_u32_e64 s[34:35], 1, v96
	v_mov_b32_e32 v94, v29
	v_cmp_gt_u32_e64 s[50:51], s33, v13
	buffer_store_dword v5, off, s[96:99], 0 offset:100 ; 4-byte Folded Spill
	v_cmp_eq_u32_e64 s[36:37], 1, v55
	v_mov_b32_e32 v95, v115
	v_cmp_eq_u32_e64 s[38:39], 1, v54
	v_mov_b32_e32 v96, v116
	v_cmp_eq_u32_e64 s[40:41], 1, v6
	v_mov_b32_e32 v97, v117
	v_cmp_eq_u32_e64 s[42:43], 1, v98
	v_mov_b32_e32 v98, v109
	v_mov_b32_e32 v118, v109
	v_cmp_eq_u32_e64 s[44:45], 1, v100
	v_mov_b32_e32 v71, v106
	v_mov_b32_e32 v119, v106
	v_cmp_eq_u32_e64 s[46:47], 1, v73
	v_mov_b32_e32 v40, v44
	v_mov_b32_e32 v120, v44
	;; [unrolled: 1-line block ×4, first 2 shown]
	s_movk_i32 s33, 0x64
	v_mov_b32_e32 v100, v101
	v_mov_b32_e32 v122, v101
	;; [unrolled: 1-line block ×39, first 2 shown]
	s_branch .LBB10_2
.LBB10_1:                               ;   in Loop: Header=BB10_2 Depth=1
	s_or_b64 exec, exec, s[52:53]
	s_add_i32 s33, s33, -1
	s_cmp_lg_u32 s33, 0
	s_waitcnt lgkmcnt(0)
	s_barrier
	s_cbranch_scc0 .LBB10_20
.LBB10_2:                               ; =>This Inner Loop Header: Depth=1
	s_and_saveexec_b64 s[52:53], s[50:51]
	s_cbranch_execz .LBB10_4
; %bb.3:                                ;   in Loop: Header=BB10_2 Depth=1
	buffer_load_dword v44, off, s[96:99], 0 offset:100 ; 4-byte Folded Reload
	s_waitcnt vmcnt(0)
	ds_write_b32 v44, v7
.LBB10_4:                               ;   in Loop: Header=BB10_2 Depth=1
	s_or_b64 exec, exec, s[52:53]
	v_cndmask_b32_e64 v44, 0, 1, s[34:35]
	s_waitcnt vmcnt(0) lgkmcnt(0)
	s_barrier
	v_cmp_ne_u32_e32 vcc, 0, v44
	buffer_load_dword v44, off, s[96:99], 0 offset:4 ; 4-byte Folded Reload
	buffer_load_dword v47, off, s[96:99], 0 offset:64 ; 4-byte Folded Reload
	buffer_load_dword v45, off, s[96:99], 0 ; 4-byte Folded Reload
	v_readlane_b32 s52, v127, 4
	v_readlane_b32 s53, v127, 5
	v_cndmask_b32_e64 v46, 0, 1, s[52:53]
	v_readlane_b32 s52, v127, 6
	v_readlane_b32 s53, v127, 7
	s_waitcnt vmcnt(2)
	v_xor_b32_e32 v44, vcc_hi, v44
	v_and_b32_e32 v44, exec_hi, v44
	s_waitcnt vmcnt(0)
	v_xor_b32_e32 v45, vcc_lo, v45
	v_cmp_ne_u32_e32 vcc, 0, v46
	buffer_load_dword v46, off, s[96:99], 0 offset:88 ; 4-byte Folded Reload
	v_and_b32_e32 v45, exec_lo, v45
	v_xor_b32_e32 v47, vcc_lo, v47
	v_and_b32_e32 v45, v45, v47
	buffer_load_dword v47, off, s[96:99], 0 offset:72 ; 4-byte Folded Reload
	s_waitcnt vmcnt(1)
	v_xor_b32_e32 v46, vcc_hi, v46
	v_and_b32_e32 v44, v44, v46
	v_cndmask_b32_e64 v46, 0, 1, s[52:53]
	v_cmp_ne_u32_e32 vcc, 0, v46
	buffer_load_dword v46, off, s[96:99], 0 offset:92 ; 4-byte Folded Reload
	s_waitcnt vmcnt(1)
	v_xor_b32_e32 v47, vcc_lo, v47
	v_readlane_b32 s52, v127, 8
	v_and_b32_e32 v45, v45, v47
	v_readlane_b32 s53, v127, 9
	buffer_load_dword v47, off, s[96:99], 0 offset:80 ; 4-byte Folded Reload
	s_waitcnt vmcnt(1)
	v_xor_b32_e32 v46, vcc_hi, v46
	v_and_b32_e32 v44, v44, v46
	v_cndmask_b32_e64 v46, 0, 1, s[52:53]
	v_cmp_ne_u32_e32 vcc, 0, v46
	buffer_load_dword v46, off, s[96:99], 0 offset:96 ; 4-byte Folded Reload
	v_readlane_b32 s52, v127, 10
	v_readlane_b32 s53, v127, 11
	s_waitcnt vmcnt(1)
	v_xor_b32_e32 v47, vcc_lo, v47
	v_and_b32_e32 v45, v45, v47
	s_waitcnt vmcnt(0)
	v_xor_b32_e32 v46, vcc_hi, v46
	v_and_b32_e32 v44, v44, v46
	v_cndmask_b32_e64 v46, 0, 1, s[52:53]
	v_cmp_ne_u32_e32 vcc, 0, v46
	v_readlane_b32 s52, v127, 12
	v_xor_b32_e32 v46, vcc_hi, v34
	v_readlane_b32 s53, v127, 13
	v_and_b32_e32 v44, v44, v46
	v_cndmask_b32_e64 v46, 0, 1, s[52:53]
	v_xor_b32_e32 v47, vcc_lo, v74
	v_cmp_ne_u32_e32 vcc, 0, v46
	v_readlane_b32 s52, v127, 14
	v_xor_b32_e32 v46, vcc_hi, v32
	v_readlane_b32 s53, v127, 15
	v_and_b32_e32 v44, v44, v46
	v_cndmask_b32_e64 v46, 0, 1, s[52:53]
	v_and_b32_e32 v45, v45, v47
	v_xor_b32_e32 v47, vcc_lo, v75
	v_cmp_ne_u32_e32 vcc, 0, v46
	v_readlane_b32 s52, v127, 16
	v_xor_b32_e32 v46, vcc_hi, v30
	v_readlane_b32 s53, v127, 17
	v_and_b32_e32 v44, v44, v46
	v_cndmask_b32_e64 v46, 0, 1, s[52:53]
	v_and_b32_e32 v45, v45, v47
	;; [unrolled: 8-line block ×3, first 2 shown]
	v_xor_b32_e32 v47, vcc_lo, v77
	v_cmp_ne_u32_e32 vcc, 0, v46
	v_and_b32_e32 v45, v45, v47
	v_xor_b32_e32 v47, vcc_lo, v78
	v_xor_b32_e32 v46, vcc_hi, v26
	v_and_b32_e32 v45, v45, v47
	v_and_b32_e32 v44, v44, v46
	v_mbcnt_lo_u32_b32 v46, v45, 0
	v_mbcnt_hi_u32_b32 v46, v44, v46
	v_cmp_eq_u32_e32 vcc, 0, v46
	s_and_saveexec_b64 s[52:53], vcc
	s_cbranch_execz .LBB10_6
; %bb.5:                                ;   in Loop: Header=BB10_2 Depth=1
	v_bcnt_u32_b32 v45, v45, 0
	v_bcnt_u32_b32 v44, v44, v45
	buffer_load_dword v45, off, s[96:99], 0 offset:104 ; 4-byte Folded Reload
	s_waitcnt vmcnt(0)
	ds_add_u32 v45, v44
.LBB10_6:                               ;   in Loop: Header=BB10_2 Depth=1
	s_or_b64 exec, exec, s[52:53]
	v_cndmask_b32_e64 v44, 0, 1, s[36:37]
	v_cmp_ne_u32_e32 vcc, 0, v44
	buffer_load_dword v44, off, s[96:99], 0 offset:12 ; 4-byte Folded Reload
	buffer_load_dword v45, off, s[96:99], 0 offset:8 ; 4-byte Folded Reload
	v_readlane_b32 s52, v127, 20
	v_readlane_b32 s53, v127, 21
	v_cndmask_b32_e64 v46, 0, 1, s[52:53]
	v_readlane_b32 s52, v127, 22
	v_readlane_b32 s53, v127, 23
	s_waitcnt vmcnt(1)
	v_xor_b32_e32 v44, vcc_hi, v44
	s_waitcnt vmcnt(0)
	v_xor_b32_e32 v45, vcc_lo, v45
	v_cmp_ne_u32_e32 vcc, 0, v46
	v_and_b32_e32 v44, exec_hi, v44
	v_xor_b32_e32 v46, vcc_hi, v24
	v_and_b32_e32 v44, v44, v46
	v_cndmask_b32_e64 v46, 0, 1, s[52:53]
	v_xor_b32_e32 v47, vcc_lo, v79
	v_cmp_ne_u32_e32 vcc, 0, v46
	v_readlane_b32 s52, v127, 24
	v_xor_b32_e32 v46, vcc_hi, v22
	v_readlane_b32 s53, v127, 25
	v_and_b32_e32 v45, exec_lo, v45
	v_and_b32_e32 v44, v44, v46
	v_cndmask_b32_e64 v46, 0, 1, s[52:53]
	v_and_b32_e32 v45, v45, v47
	v_xor_b32_e32 v47, vcc_lo, v80
	v_cmp_ne_u32_e32 vcc, 0, v46
	v_readlane_b32 s52, v127, 26
	v_xor_b32_e32 v46, vcc_hi, v20
	v_readlane_b32 s53, v127, 27
	v_and_b32_e32 v44, v44, v46
	v_cndmask_b32_e64 v46, 0, 1, s[52:53]
	v_and_b32_e32 v45, v45, v47
	v_xor_b32_e32 v47, vcc_lo, v81
	v_cmp_ne_u32_e32 vcc, 0, v46
	v_readlane_b32 s52, v127, 28
	v_xor_b32_e32 v46, vcc_hi, v18
	v_readlane_b32 s53, v127, 29
	;; [unrolled: 8-line block ×5, first 2 shown]
	v_and_b32_e32 v44, v44, v46
	v_cndmask_b32_e64 v46, 0, 1, s[52:53]
	v_and_b32_e32 v45, v45, v47
	v_xor_b32_e32 v47, vcc_lo, v85
	v_cmp_ne_u32_e32 vcc, 0, v46
	v_and_b32_e32 v45, v45, v47
	v_xor_b32_e32 v47, vcc_lo, v86
	v_xor_b32_e32 v46, vcc_hi, v10
	v_and_b32_e32 v45, v45, v47
	v_and_b32_e32 v44, v44, v46
	v_mbcnt_lo_u32_b32 v46, v45, 0
	v_mbcnt_hi_u32_b32 v46, v44, v46
	v_cmp_eq_u32_e32 vcc, 0, v46
	s_and_saveexec_b64 s[52:53], vcc
	s_cbranch_execz .LBB10_8
; %bb.7:                                ;   in Loop: Header=BB10_2 Depth=1
	v_bcnt_u32_b32 v45, v45, 0
	v_bcnt_u32_b32 v44, v44, v45
	buffer_load_dword v45, off, s[96:99], 0 offset:108 ; 4-byte Folded Reload
	s_waitcnt vmcnt(0)
	ds_add_u32 v45, v44
.LBB10_8:                               ;   in Loop: Header=BB10_2 Depth=1
	s_or_b64 exec, exec, s[52:53]
	v_cndmask_b32_e64 v44, 0, 1, s[38:39]
	v_cmp_ne_u32_e32 vcc, 0, v44
	buffer_load_dword v44, off, s[96:99], 0 offset:20 ; 4-byte Folded Reload
	buffer_load_dword v45, off, s[96:99], 0 offset:16 ; 4-byte Folded Reload
	v_readlane_b32 s52, v127, 36
	v_readlane_b32 s53, v127, 37
	v_cndmask_b32_e64 v46, 0, 1, s[52:53]
	v_readlane_b32 s52, v127, 38
	v_readlane_b32 s53, v127, 39
	s_waitcnt vmcnt(1)
	v_xor_b32_e32 v44, vcc_hi, v44
	s_waitcnt vmcnt(0)
	v_xor_b32_e32 v45, vcc_lo, v45
	v_cmp_ne_u32_e32 vcc, 0, v46
	v_and_b32_e32 v44, exec_hi, v44
	v_xor_b32_e32 v46, vcc_hi, v11
	v_and_b32_e32 v44, v44, v46
	v_cndmask_b32_e64 v46, 0, 1, s[52:53]
	v_xor_b32_e32 v47, vcc_lo, v87
	v_cmp_ne_u32_e32 vcc, 0, v46
	v_readlane_b32 s52, v127, 40
	v_xor_b32_e32 v46, vcc_hi, v8
	v_readlane_b32 s53, v127, 41
	v_and_b32_e32 v45, exec_lo, v45
	v_and_b32_e32 v44, v44, v46
	v_cndmask_b32_e64 v46, 0, 1, s[52:53]
	v_and_b32_e32 v45, v45, v47
	v_xor_b32_e32 v47, vcc_lo, v88
	v_cmp_ne_u32_e32 vcc, 0, v46
	v_readlane_b32 s52, v127, 42
	v_xor_b32_e32 v46, vcc_hi, v9
	v_readlane_b32 s53, v127, 43
	v_and_b32_e32 v44, v44, v46
	v_cndmask_b32_e64 v46, 0, 1, s[52:53]
	v_and_b32_e32 v45, v45, v47
	v_xor_b32_e32 v47, vcc_lo, v89
	v_cmp_ne_u32_e32 vcc, 0, v46
	v_readlane_b32 s52, v127, 44
	v_xor_b32_e32 v46, vcc_hi, v3
	v_readlane_b32 s53, v127, 45
	;; [unrolled: 8-line block ×5, first 2 shown]
	v_and_b32_e32 v44, v44, v46
	v_cndmask_b32_e64 v46, 0, 1, s[52:53]
	v_and_b32_e32 v45, v45, v47
	v_xor_b32_e32 v47, vcc_lo, v93
	v_cmp_ne_u32_e32 vcc, 0, v46
	v_and_b32_e32 v45, v45, v47
	v_xor_b32_e32 v47, vcc_lo, v94
	v_xor_b32_e32 v46, vcc_hi, v29
	v_and_b32_e32 v45, v45, v47
	v_and_b32_e32 v44, v44, v46
	v_mbcnt_lo_u32_b32 v46, v45, 0
	v_mbcnt_hi_u32_b32 v46, v44, v46
	v_cmp_eq_u32_e32 vcc, 0, v46
	s_and_saveexec_b64 s[52:53], vcc
	s_cbranch_execz .LBB10_10
; %bb.9:                                ;   in Loop: Header=BB10_2 Depth=1
	v_bcnt_u32_b32 v45, v45, 0
	v_bcnt_u32_b32 v44, v44, v45
	buffer_load_dword v45, off, s[96:99], 0 offset:112 ; 4-byte Folded Reload
	s_waitcnt vmcnt(0)
	ds_add_u32 v45, v44
.LBB10_10:                              ;   in Loop: Header=BB10_2 Depth=1
	s_or_b64 exec, exec, s[52:53]
	v_cndmask_b32_e64 v44, 0, 1, s[40:41]
	v_cmp_ne_u32_e32 vcc, 0, v44
	buffer_load_dword v44, off, s[96:99], 0 offset:28 ; 4-byte Folded Reload
	buffer_load_dword v45, off, s[96:99], 0 offset:24 ; 4-byte Folded Reload
	v_readlane_b32 s52, v127, 52
	v_readlane_b32 s53, v127, 53
	v_cndmask_b32_e64 v46, 0, 1, s[52:53]
	v_readlane_b32 s52, v127, 54
	v_readlane_b32 s53, v127, 55
	s_waitcnt vmcnt(1)
	v_xor_b32_e32 v44, vcc_hi, v44
	s_waitcnt vmcnt(0)
	v_xor_b32_e32 v45, vcc_lo, v45
	v_cmp_ne_u32_e32 vcc, 0, v46
	v_and_b32_e32 v44, exec_hi, v44
	v_xor_b32_e32 v46, vcc_hi, v115
	v_and_b32_e32 v44, v44, v46
	v_cndmask_b32_e64 v46, 0, 1, s[52:53]
	v_xor_b32_e32 v47, vcc_lo, v95
	v_cmp_ne_u32_e32 vcc, 0, v46
	v_readlane_b32 s52, v127, 56
	v_xor_b32_e32 v46, vcc_hi, v116
	v_readlane_b32 s53, v127, 57
	v_and_b32_e32 v45, exec_lo, v45
	v_and_b32_e32 v44, v44, v46
	v_cndmask_b32_e64 v46, 0, 1, s[52:53]
	v_and_b32_e32 v45, v45, v47
	v_xor_b32_e32 v47, vcc_lo, v96
	v_cmp_ne_u32_e32 vcc, 0, v46
	v_xor_b32_e32 v46, vcc_hi, v117
	v_and_b32_e32 v44, v44, v46
	v_cndmask_b32_e64 v46, 0, 1, s[54:55]
	v_and_b32_e32 v45, v45, v47
	v_xor_b32_e32 v47, vcc_lo, v97
	v_cmp_ne_u32_e32 vcc, 0, v46
	v_xor_b32_e32 v46, vcc_hi, v118
	;; [unrolled: 6-line block ×5, first 2 shown]
	v_and_b32_e32 v44, v44, v46
	v_cndmask_b32_e64 v46, 0, 1, s[62:63]
	v_and_b32_e32 v45, v45, v47
	v_xor_b32_e32 v47, vcc_lo, v99
	v_cmp_ne_u32_e32 vcc, 0, v46
	v_and_b32_e32 v45, v45, v47
	v_xor_b32_e32 v47, vcc_lo, v100
	v_xor_b32_e32 v46, vcc_hi, v122
	v_and_b32_e32 v45, v45, v47
	v_and_b32_e32 v44, v44, v46
	v_mbcnt_lo_u32_b32 v46, v45, 0
	v_mbcnt_hi_u32_b32 v46, v44, v46
	v_cmp_eq_u32_e32 vcc, 0, v46
	s_and_saveexec_b64 s[52:53], vcc
	s_cbranch_execz .LBB10_12
; %bb.11:                               ;   in Loop: Header=BB10_2 Depth=1
	v_bcnt_u32_b32 v45, v45, 0
	v_bcnt_u32_b32 v44, v44, v45
	buffer_load_dword v45, off, s[96:99], 0 offset:116 ; 4-byte Folded Reload
	s_waitcnt vmcnt(0)
	ds_add_u32 v45, v44
.LBB10_12:                              ;   in Loop: Header=BB10_2 Depth=1
	s_or_b64 exec, exec, s[52:53]
	v_cndmask_b32_e64 v44, 0, 1, s[42:43]
	v_cmp_ne_u32_e32 vcc, 0, v44
	buffer_load_dword v44, off, s[96:99], 0 offset:36 ; 4-byte Folded Reload
	buffer_load_dword v45, off, s[96:99], 0 offset:32 ; 4-byte Folded Reload
	v_cndmask_b32_e64 v46, 0, 1, s[64:65]
	s_waitcnt vmcnt(1)
	v_xor_b32_e32 v44, vcc_hi, v44
	s_waitcnt vmcnt(0)
	v_xor_b32_e32 v45, vcc_lo, v45
	v_cmp_ne_u32_e32 vcc, 0, v46
	v_and_b32_e32 v44, exec_hi, v44
	v_xor_b32_e32 v46, vcc_hi, v123
	v_and_b32_e32 v44, v44, v46
	v_cndmask_b32_e64 v46, 0, 1, s[66:67]
	v_xor_b32_e32 v47, vcc_lo, v5
	v_cmp_ne_u32_e32 vcc, 0, v46
	v_xor_b32_e32 v46, vcc_hi, v124
	v_and_b32_e32 v45, exec_lo, v45
	v_and_b32_e32 v44, v44, v46
	v_cndmask_b32_e64 v46, 0, 1, s[68:69]
	v_and_b32_e32 v45, v45, v47
	v_xor_b32_e32 v47, vcc_lo, v6
	v_cmp_ne_u32_e32 vcc, 0, v46
	v_xor_b32_e32 v46, vcc_hi, v125
	v_and_b32_e32 v44, v44, v46
	v_cndmask_b32_e64 v46, 0, 1, s[70:71]
	v_and_b32_e32 v45, v45, v47
	v_xor_b32_e32 v47, vcc_lo, v72
	v_cmp_ne_u32_e32 vcc, 0, v46
	v_xor_b32_e32 v46, vcc_hi, v126
	v_and_b32_e32 v44, v44, v46
	v_cndmask_b32_e64 v46, 0, 1, s[72:73]
	v_and_b32_e32 v45, v45, v47
	v_xor_b32_e32 v47, vcc_lo, v54
	v_cmp_ne_u32_e32 vcc, 0, v46
	v_xor_b32_e32 v46, vcc_hi, v101
	v_and_b32_e32 v44, v44, v46
	v_cndmask_b32_e64 v46, 0, 1, s[74:75]
	v_and_b32_e32 v45, v45, v47
	v_xor_b32_e32 v47, vcc_lo, v38
	v_cmp_ne_u32_e32 vcc, 0, v46
	v_xor_b32_e32 v46, vcc_hi, v102
	v_and_b32_e32 v44, v44, v46
	v_cndmask_b32_e64 v46, 0, 1, s[76:77]
	v_and_b32_e32 v45, v45, v47
	v_xor_b32_e32 v47, vcc_lo, v55
	v_cmp_ne_u32_e32 vcc, 0, v46
	v_xor_b32_e32 v46, vcc_hi, v103
	v_and_b32_e32 v44, v44, v46
	v_cndmask_b32_e64 v46, 0, 1, s[78:79]
	v_and_b32_e32 v45, v45, v47
	v_xor_b32_e32 v47, vcc_lo, v73
	v_cmp_ne_u32_e32 vcc, 0, v46
	v_and_b32_e32 v45, v45, v47
	v_xor_b32_e32 v47, vcc_lo, v36
	v_xor_b32_e32 v46, vcc_hi, v104
	v_and_b32_e32 v45, v45, v47
	v_and_b32_e32 v44, v44, v46
	v_mbcnt_lo_u32_b32 v46, v45, 0
	v_mbcnt_hi_u32_b32 v46, v44, v46
	v_cmp_eq_u32_e32 vcc, 0, v46
	s_and_saveexec_b64 s[52:53], vcc
	s_cbranch_execz .LBB10_14
; %bb.13:                               ;   in Loop: Header=BB10_2 Depth=1
	v_bcnt_u32_b32 v45, v45, 0
	v_bcnt_u32_b32 v44, v44, v45
	buffer_load_dword v45, off, s[96:99], 0 offset:120 ; 4-byte Folded Reload
	s_waitcnt vmcnt(0)
	ds_add_u32 v45, v44
.LBB10_14:                              ;   in Loop: Header=BB10_2 Depth=1
	s_or_b64 exec, exec, s[52:53]
	v_cndmask_b32_e64 v44, 0, 1, s[44:45]
	v_cmp_ne_u32_e32 vcc, 0, v44
	buffer_load_dword v44, off, s[96:99], 0 offset:44 ; 4-byte Folded Reload
	buffer_load_dword v45, off, s[96:99], 0 offset:40 ; 4-byte Folded Reload
	v_cndmask_b32_e64 v46, 0, 1, s[80:81]
	s_waitcnt vmcnt(1)
	v_xor_b32_e32 v44, vcc_hi, v44
	s_waitcnt vmcnt(0)
	v_xor_b32_e32 v45, vcc_lo, v45
	v_cmp_ne_u32_e32 vcc, 0, v46
	v_and_b32_e32 v44, exec_hi, v44
	v_xor_b32_e32 v46, vcc_hi, v13
	v_and_b32_e32 v44, v44, v46
	v_cndmask_b32_e64 v46, 0, 1, s[82:83]
	v_xor_b32_e32 v47, vcc_lo, v56
	v_cmp_ne_u32_e32 vcc, 0, v46
	v_xor_b32_e32 v46, vcc_hi, v15
	v_and_b32_e32 v45, exec_lo, v45
	v_and_b32_e32 v44, v44, v46
	v_cndmask_b32_e64 v46, 0, 1, s[84:85]
	v_and_b32_e32 v45, v45, v47
	v_xor_b32_e32 v47, vcc_lo, v57
	v_cmp_ne_u32_e32 vcc, 0, v46
	v_xor_b32_e32 v46, vcc_hi, v17
	v_and_b32_e32 v44, v44, v46
	v_cndmask_b32_e64 v46, 0, 1, s[86:87]
	v_and_b32_e32 v45, v45, v47
	v_xor_b32_e32 v47, vcc_lo, v58
	v_cmp_ne_u32_e32 vcc, 0, v46
	v_xor_b32_e32 v46, vcc_hi, v19
	;; [unrolled: 6-line block ×5, first 2 shown]
	v_and_b32_e32 v44, v44, v46
	v_cndmask_b32_e64 v46, 0, 1, s[94:95]
	v_and_b32_e32 v45, v45, v47
	v_xor_b32_e32 v47, vcc_lo, v0
	v_cmp_ne_u32_e32 vcc, 0, v46
	v_and_b32_e32 v45, v45, v47
	v_xor_b32_e32 v47, vcc_lo, v62
	v_xor_b32_e32 v46, vcc_hi, v27
	v_and_b32_e32 v45, v45, v47
	v_and_b32_e32 v44, v44, v46
	v_mbcnt_lo_u32_b32 v46, v45, 0
	v_mbcnt_hi_u32_b32 v46, v44, v46
	v_cmp_eq_u32_e32 vcc, 0, v46
	s_and_saveexec_b64 s[52:53], vcc
	s_cbranch_execz .LBB10_16
; %bb.15:                               ;   in Loop: Header=BB10_2 Depth=1
	v_bcnt_u32_b32 v45, v45, 0
	v_bcnt_u32_b32 v44, v44, v45
	buffer_load_dword v45, off, s[96:99], 0 offset:124 ; 4-byte Folded Reload
	s_waitcnt vmcnt(0)
	ds_add_u32 v45, v44
.LBB10_16:                              ;   in Loop: Header=BB10_2 Depth=1
	s_or_b64 exec, exec, s[52:53]
	v_cndmask_b32_e64 v44, 0, 1, s[46:47]
	v_cmp_ne_u32_e32 vcc, 0, v44
	buffer_load_dword v44, off, s[96:99], 0 offset:52 ; 4-byte Folded Reload
	buffer_load_dword v45, off, s[96:99], 0 offset:48 ; 4-byte Folded Reload
	v_cndmask_b32_e64 v46, 0, 1, s[0:1]
	s_waitcnt vmcnt(1)
	v_xor_b32_e32 v44, vcc_hi, v44
	s_waitcnt vmcnt(0)
	v_xor_b32_e32 v45, vcc_lo, v45
	v_cmp_ne_u32_e32 vcc, 0, v46
	v_and_b32_e32 v44, exec_hi, v44
	v_xor_b32_e32 v46, vcc_hi, v31
	v_and_b32_e32 v44, v44, v46
	v_cndmask_b32_e64 v46, 0, 1, s[2:3]
	v_xor_b32_e32 v47, vcc_lo, v63
	v_cmp_ne_u32_e32 vcc, 0, v46
	v_xor_b32_e32 v46, vcc_hi, v33
	v_and_b32_e32 v45, exec_lo, v45
	v_and_b32_e32 v44, v44, v46
	v_cndmask_b32_e64 v46, 0, 1, s[4:5]
	v_and_b32_e32 v45, v45, v47
	v_xor_b32_e32 v47, vcc_lo, v64
	v_cmp_ne_u32_e32 vcc, 0, v46
	v_xor_b32_e32 v46, vcc_hi, v35
	v_and_b32_e32 v44, v44, v46
	v_cndmask_b32_e64 v46, 0, 1, s[6:7]
	v_and_b32_e32 v45, v45, v47
	v_xor_b32_e32 v47, vcc_lo, v65
	v_cmp_ne_u32_e32 vcc, 0, v46
	v_xor_b32_e32 v46, vcc_hi, v37
	;; [unrolled: 6-line block ×5, first 2 shown]
	v_and_b32_e32 v44, v44, v46
	v_cndmask_b32_e64 v46, 0, 1, s[14:15]
	v_and_b32_e32 v45, v45, v47
	v_xor_b32_e32 v47, vcc_lo, v48
	v_cmp_ne_u32_e32 vcc, 0, v46
	v_and_b32_e32 v45, v45, v47
	v_xor_b32_e32 v47, vcc_lo, v49
	v_xor_b32_e32 v46, vcc_hi, v106
	v_and_b32_e32 v45, v45, v47
	v_and_b32_e32 v44, v44, v46
	v_mbcnt_lo_u32_b32 v46, v45, 0
	v_mbcnt_hi_u32_b32 v46, v44, v46
	v_cmp_eq_u32_e32 vcc, 0, v46
	s_and_saveexec_b64 s[52:53], vcc
	s_cbranch_execz .LBB10_18
; %bb.17:                               ;   in Loop: Header=BB10_2 Depth=1
	v_bcnt_u32_b32 v45, v45, 0
	v_bcnt_u32_b32 v44, v44, v45
	buffer_load_dword v45, off, s[96:99], 0 offset:128 ; 4-byte Folded Reload
	s_waitcnt vmcnt(0)
	ds_add_u32 v45, v44
.LBB10_18:                              ;   in Loop: Header=BB10_2 Depth=1
	s_or_b64 exec, exec, s[52:53]
	v_cndmask_b32_e64 v44, 0, 1, s[48:49]
	v_cmp_ne_u32_e32 vcc, 0, v44
	buffer_load_dword v44, off, s[96:99], 0 offset:60 ; 4-byte Folded Reload
	buffer_load_dword v45, off, s[96:99], 0 offset:56 ; 4-byte Folded Reload
	v_cndmask_b32_e64 v46, 0, 1, s[16:17]
	s_waitcnt vmcnt(1)
	v_xor_b32_e32 v44, vcc_hi, v44
	s_waitcnt vmcnt(0)
	v_xor_b32_e32 v45, vcc_lo, v45
	v_cmp_ne_u32_e32 vcc, 0, v46
	v_and_b32_e32 v44, exec_hi, v44
	v_xor_b32_e32 v46, vcc_hi, v107
	v_and_b32_e32 v44, v44, v46
	v_cndmask_b32_e64 v46, 0, 1, s[18:19]
	v_xor_b32_e32 v47, vcc_lo, v50
	v_cmp_ne_u32_e32 vcc, 0, v46
	v_xor_b32_e32 v46, vcc_hi, v108
	v_and_b32_e32 v45, exec_lo, v45
	v_and_b32_e32 v44, v44, v46
	v_cndmask_b32_e64 v46, 0, 1, s[20:21]
	v_and_b32_e32 v45, v45, v47
	v_xor_b32_e32 v47, vcc_lo, v51
	v_cmp_ne_u32_e32 vcc, 0, v46
	v_xor_b32_e32 v46, vcc_hi, v109
	v_and_b32_e32 v44, v44, v46
	v_cndmask_b32_e64 v46, 0, 1, s[22:23]
	v_and_b32_e32 v45, v45, v47
	v_xor_b32_e32 v47, vcc_lo, v67
	v_cmp_ne_u32_e32 vcc, 0, v46
	v_xor_b32_e32 v46, vcc_hi, v110
	;; [unrolled: 6-line block ×5, first 2 shown]
	v_and_b32_e32 v44, v44, v46
	v_cndmask_b32_e64 v46, 0, 1, s[30:31]
	v_and_b32_e32 v45, v45, v47
	v_xor_b32_e32 v47, vcc_lo, v42
	v_cmp_ne_u32_e32 vcc, 0, v46
	v_and_b32_e32 v45, v45, v47
	v_xor_b32_e32 v47, vcc_lo, v43
	v_xor_b32_e32 v46, vcc_hi, v114
	v_and_b32_e32 v45, v45, v47
	v_and_b32_e32 v44, v44, v46
	v_mbcnt_lo_u32_b32 v46, v45, 0
	v_mbcnt_hi_u32_b32 v46, v44, v46
	v_cmp_eq_u32_e32 vcc, 0, v46
	s_and_saveexec_b64 s[52:53], vcc
	s_cbranch_execz .LBB10_1
; %bb.19:                               ;   in Loop: Header=BB10_2 Depth=1
	v_bcnt_u32_b32 v45, v45, 0
	v_bcnt_u32_b32 v44, v44, v45
	buffer_load_dword v45, off, s[96:99], 0 offset:132 ; 4-byte Folded Reload
	s_waitcnt vmcnt(0)
	ds_add_u32 v45, v44
	s_branch .LBB10_1
.LBB10_20:
	s_and_saveexec_b64 s[0:1], s[50:51]
	s_cbranch_execz .LBB10_22
; %bb.21:
	buffer_load_dword v0, off, s[96:99], 0 offset:140 ; 4-byte Folded Reload
	buffer_load_dword v1, off, s[96:99], 0 offset:144 ; 4-byte Folded Reload
	;; [unrolled: 1-line block ×3, first 2 shown]
	s_waitcnt vmcnt(1)
	v_mov_b32_e32 v1, 0
	v_readlane_b32 s0, v127, 0
	v_readlane_b32 s2, v127, 2
	;; [unrolled: 1-line block ×3, first 2 shown]
	v_mov_b32_e32 v2, s3
	v_readlane_b32 s1, v127, 1
	v_lshlrev_b64 v[0:1], 2, v[0:1]
	s_waitcnt vmcnt(0)
	ds_read_b32 v3, v3
	v_add_co_u32_e32 v0, vcc, s2, v0
	v_addc_co_u32_e32 v1, vcc, v2, v1, vcc
	s_waitcnt lgkmcnt(0)
	global_store_dword v[0:1], v3, off
.LBB10_22:
	s_endpgm
	.section	.rodata,"a",@progbits
	.p2align	6, 0x0
	.amdhsa_kernel _Z6kernelI9histogramILN6hipcub23BlockHistogramAlgorithmE0EEiLj320ELj8ELj320ELj100EEvPKT0_PS4_
		.amdhsa_group_segment_fixed_size 1280
		.amdhsa_private_segment_fixed_size 152
		.amdhsa_kernarg_size 16
		.amdhsa_user_sgpr_count 6
		.amdhsa_user_sgpr_private_segment_buffer 1
		.amdhsa_user_sgpr_dispatch_ptr 0
		.amdhsa_user_sgpr_queue_ptr 0
		.amdhsa_user_sgpr_kernarg_segment_ptr 1
		.amdhsa_user_sgpr_dispatch_id 0
		.amdhsa_user_sgpr_flat_scratch_init 0
		.amdhsa_user_sgpr_private_segment_size 0
		.amdhsa_uses_dynamic_stack 0
		.amdhsa_system_sgpr_private_segment_wavefront_offset 1
		.amdhsa_system_sgpr_workgroup_id_x 1
		.amdhsa_system_sgpr_workgroup_id_y 0
		.amdhsa_system_sgpr_workgroup_id_z 0
		.amdhsa_system_sgpr_workgroup_info 0
		.amdhsa_system_vgpr_workitem_id 0
		.amdhsa_next_free_vgpr 128
		.amdhsa_next_free_sgpr 100
		.amdhsa_reserve_vcc 1
		.amdhsa_reserve_flat_scratch 0
		.amdhsa_float_round_mode_32 0
		.amdhsa_float_round_mode_16_64 0
		.amdhsa_float_denorm_mode_32 3
		.amdhsa_float_denorm_mode_16_64 3
		.amdhsa_dx10_clamp 1
		.amdhsa_ieee_mode 1
		.amdhsa_fp16_overflow 0
		.amdhsa_exception_fp_ieee_invalid_op 0
		.amdhsa_exception_fp_denorm_src 0
		.amdhsa_exception_fp_ieee_div_zero 0
		.amdhsa_exception_fp_ieee_overflow 0
		.amdhsa_exception_fp_ieee_underflow 0
		.amdhsa_exception_fp_ieee_inexact 0
		.amdhsa_exception_int_div_zero 0
	.end_amdhsa_kernel
	.section	.text._Z6kernelI9histogramILN6hipcub23BlockHistogramAlgorithmE0EEiLj320ELj8ELj320ELj100EEvPKT0_PS4_,"axG",@progbits,_Z6kernelI9histogramILN6hipcub23BlockHistogramAlgorithmE0EEiLj320ELj8ELj320ELj100EEvPKT0_PS4_,comdat
.Lfunc_end10:
	.size	_Z6kernelI9histogramILN6hipcub23BlockHistogramAlgorithmE0EEiLj320ELj8ELj320ELj100EEvPKT0_PS4_, .Lfunc_end10-_Z6kernelI9histogramILN6hipcub23BlockHistogramAlgorithmE0EEiLj320ELj8ELj320ELj100EEvPKT0_PS4_
                                        ; -- End function
	.set _Z6kernelI9histogramILN6hipcub23BlockHistogramAlgorithmE0EEiLj320ELj8ELj320ELj100EEvPKT0_PS4_.num_vgpr, 128
	.set _Z6kernelI9histogramILN6hipcub23BlockHistogramAlgorithmE0EEiLj320ELj8ELj320ELj100EEvPKT0_PS4_.num_agpr, 0
	.set _Z6kernelI9histogramILN6hipcub23BlockHistogramAlgorithmE0EEiLj320ELj8ELj320ELj100EEvPKT0_PS4_.numbered_sgpr, 100
	.set _Z6kernelI9histogramILN6hipcub23BlockHistogramAlgorithmE0EEiLj320ELj8ELj320ELj100EEvPKT0_PS4_.num_named_barrier, 0
	.set _Z6kernelI9histogramILN6hipcub23BlockHistogramAlgorithmE0EEiLj320ELj8ELj320ELj100EEvPKT0_PS4_.private_seg_size, 152
	.set _Z6kernelI9histogramILN6hipcub23BlockHistogramAlgorithmE0EEiLj320ELj8ELj320ELj100EEvPKT0_PS4_.uses_vcc, 1
	.set _Z6kernelI9histogramILN6hipcub23BlockHistogramAlgorithmE0EEiLj320ELj8ELj320ELj100EEvPKT0_PS4_.uses_flat_scratch, 0
	.set _Z6kernelI9histogramILN6hipcub23BlockHistogramAlgorithmE0EEiLj320ELj8ELj320ELj100EEvPKT0_PS4_.has_dyn_sized_stack, 0
	.set _Z6kernelI9histogramILN6hipcub23BlockHistogramAlgorithmE0EEiLj320ELj8ELj320ELj100EEvPKT0_PS4_.has_recursion, 0
	.set _Z6kernelI9histogramILN6hipcub23BlockHistogramAlgorithmE0EEiLj320ELj8ELj320ELj100EEvPKT0_PS4_.has_indirect_call, 0
	.section	.AMDGPU.csdata,"",@progbits
; Kernel info:
; codeLenInByte = 6572
; TotalNumSgprs: 104
; NumVgprs: 128
; ScratchSize: 152
; MemoryBound: 0
; FloatMode: 240
; IeeeMode: 1
; LDSByteSize: 1280 bytes/workgroup (compile time only)
; SGPRBlocks: 12
; VGPRBlocks: 31
; NumSGPRsForWavesPerEU: 104
; NumVGPRsForWavesPerEU: 128
; Occupancy: 2
; WaveLimiterHint : 0
; COMPUTE_PGM_RSRC2:SCRATCH_EN: 1
; COMPUTE_PGM_RSRC2:USER_SGPR: 6
; COMPUTE_PGM_RSRC2:TRAP_HANDLER: 0
; COMPUTE_PGM_RSRC2:TGID_X_EN: 1
; COMPUTE_PGM_RSRC2:TGID_Y_EN: 0
; COMPUTE_PGM_RSRC2:TGID_Z_EN: 0
; COMPUTE_PGM_RSRC2:TIDIG_COMP_CNT: 0
	.section	.text._Z6kernelI9histogramILN6hipcub23BlockHistogramAlgorithmE0EEiLj320ELj16ELj320ELj100EEvPKT0_PS4_,"axG",@progbits,_Z6kernelI9histogramILN6hipcub23BlockHistogramAlgorithmE0EEiLj320ELj16ELj320ELj100EEvPKT0_PS4_,comdat
	.protected	_Z6kernelI9histogramILN6hipcub23BlockHistogramAlgorithmE0EEiLj320ELj16ELj320ELj100EEvPKT0_PS4_ ; -- Begin function _Z6kernelI9histogramILN6hipcub23BlockHistogramAlgorithmE0EEiLj320ELj16ELj320ELj100EEvPKT0_PS4_
	.globl	_Z6kernelI9histogramILN6hipcub23BlockHistogramAlgorithmE0EEiLj320ELj16ELj320ELj100EEvPKT0_PS4_
	.p2align	8
	.type	_Z6kernelI9histogramILN6hipcub23BlockHistogramAlgorithmE0EEiLj320ELj16ELj320ELj100EEvPKT0_PS4_,@function
_Z6kernelI9histogramILN6hipcub23BlockHistogramAlgorithmE0EEiLj320ELj16ELj320ELj100EEvPKT0_PS4_: ; @_Z6kernelI9histogramILN6hipcub23BlockHistogramAlgorithmE0EEiLj320ELj16ELj320ELj100EEvPKT0_PS4_
; %bb.0:
	s_mov_b64 s[98:99], s[2:3]
	s_mov_b64 s[96:97], s[0:1]
	s_add_u32 s96, s96, s7
	s_mulk_i32 s6, 0x140
	s_addc_u32 s97, s97, 0
	v_add_u32_e32 v1, s6, v0
	buffer_store_dword v0, off, s[96:99], 0 ; 4-byte Folded Spill
	v_mov_b32_e32 v0, v1
	buffer_store_dword v0, off, s[96:99], 0 offset:888 ; 4-byte Folded Spill
	s_nop 0
	buffer_store_dword v1, off, s[96:99], 0 offset:892 ; 4-byte Folded Spill
	s_load_dwordx4 s[0:3], s[4:5], 0x0
	v_mov_b32_e32 v93, 0
                                        ; implicit-def: $vgpr124 : SGPR spill to VGPR lane
	v_mov_b32_e32 v20, v93
                                        ; implicit-def: $vgpr125 : SGPR spill to VGPR lane
                                        ; implicit-def: $vgpr126 : SGPR spill to VGPR lane
                                        ; implicit-def: $vgpr127 : SGPR spill to VGPR lane
	s_movk_i32 s33, 0x64
	s_waitcnt lgkmcnt(0)
	v_mov_b32_e32 v2, s1
	v_writelane_b32 v124, s0, 0
	v_writelane_b32 v124, s1, 1
	;; [unrolled: 1-line block ×4, first 2 shown]
	v_lshlrev_b32_e32 v92, 4, v1
	v_lshlrev_b64 v[0:1], 2, v[92:93]
	v_add_co_u32_e32 v68, vcc, s0, v0
	v_addc_co_u32_e32 v69, vcc, v2, v1, vcc
	global_load_dwordx4 v[1:4], v[68:69], off
	global_load_dwordx4 v[5:8], v[68:69], off offset:16
	s_waitcnt vmcnt(1)
	v_and_b32_e32 v0, 1, v1
	buffer_store_dword v0, off, s[96:99], 0 offset:4 ; 4-byte Folded Spill
	v_lshlrev_b32_e32 v0, 2, v1
	buffer_store_dword v0, off, s[96:99], 0 offset:712 ; 4-byte Folded Spill
	v_and_b32_e32 v0, 1, v2
	buffer_store_dword v0, off, s[96:99], 0 offset:16 ; 4-byte Folded Spill
	v_lshlrev_b32_e32 v0, 2, v2
	buffer_store_dword v0, off, s[96:99], 0 offset:716 ; 4-byte Folded Spill
	v_and_b32_e32 v0, 1, v3
	buffer_store_dword v0, off, s[96:99], 0 offset:8 ; 4-byte Folded Spill
	v_lshlrev_b32_e32 v0, 2, v3
	buffer_store_dword v0, off, s[96:99], 0 offset:720 ; 4-byte Folded Spill
	v_and_b32_e32 v0, 1, v4
	buffer_store_dword v0, off, s[96:99], 0 offset:12 ; 4-byte Folded Spill
	v_lshlrev_b32_e32 v0, 2, v4
	buffer_store_dword v0, off, s[96:99], 0 offset:724 ; 4-byte Folded Spill
	s_waitcnt vmcnt(8)
	v_and_b32_e32 v0, 1, v5
	buffer_store_dword v0, off, s[96:99], 0 offset:20 ; 4-byte Folded Spill
	v_lshlrev_b32_e32 v0, 2, v5
	buffer_store_dword v0, off, s[96:99], 0 offset:728 ; 4-byte Folded Spill
	v_and_b32_e32 v0, 1, v6
	buffer_store_dword v0, off, s[96:99], 0 offset:24 ; 4-byte Folded Spill
	v_lshlrev_b32_e32 v0, 2, v6
	buffer_store_dword v0, off, s[96:99], 0 offset:732 ; 4-byte Folded Spill
	;; [unrolled: 4-line block ×3, first 2 shown]
	v_and_b32_e32 v0, 1, v8
	v_lshlrev_b32_e32 v21, 30, v1
	v_lshlrev_b32_e32 v50, 29, v1
	v_lshlrev_b32_e32 v22, 28, v1
	v_lshlrev_b32_e32 v23, 27, v1
	v_lshlrev_b32_e32 v24, 26, v1
	v_lshlrev_b32_e32 v25, 25, v1
	v_lshlrev_b32_e32 v26, 24, v1
	v_lshlrev_b32_e32 v27, 23, v1
	buffer_store_dword v0, off, s[96:99], 0 offset:32 ; 4-byte Folded Spill
	v_lshlrev_b32_e32 v0, 2, v8
	v_lshlrev_b32_e32 v1, 28, v5
	buffer_store_dword v0, off, s[96:99], 0 offset:740 ; 4-byte Folded Spill
	buffer_store_dword v0, off, s[96:99], 0 offset:124 ; 4-byte Folded Spill
	s_nop 0
	buffer_store_dword v1, off, s[96:99], 0 offset:128 ; 4-byte Folded Spill
	v_lshlrev_b32_e32 v1, 27, v5
	v_lshlrev_b32_e32 v28, 30, v2
	;; [unrolled: 1-line block ×48, first 2 shown]
	buffer_store_dword v0, off, s[96:99], 0 offset:116 ; 4-byte Folded Spill
	s_nop 0
	buffer_store_dword v1, off, s[96:99], 0 offset:120 ; 4-byte Folded Spill
	v_lshlrev_b32_e32 v1, 26, v5
	v_lshlrev_b32_e32 v52, 23, v8
	v_cmp_gt_i64_e64 s[0:1], 0, v[20:21]
	buffer_store_dword v0, off, s[96:99], 0 offset:108 ; 4-byte Folded Spill
	s_nop 0
	buffer_store_dword v1, off, s[96:99], 0 offset:112 ; 4-byte Folded Spill
	v_lshlrev_b32_e32 v1, 25, v5
	v_writelane_b32 v124, s0, 4
	v_writelane_b32 v124, s1, 5
	buffer_store_dword v0, off, s[96:99], 0 offset:100 ; 4-byte Folded Spill
	s_nop 0
	buffer_store_dword v1, off, s[96:99], 0 offset:104 ; 4-byte Folded Spill
	v_lshlrev_b32_e32 v1, 24, v5
	buffer_store_dword v0, off, s[96:99], 0 offset:92 ; 4-byte Folded Spill
	s_nop 0
	buffer_store_dword v1, off, s[96:99], 0 offset:96 ; 4-byte Folded Spill
	v_lshlrev_b32_e32 v1, 23, v5
	;; [unrolled: 4-line block ×4, first 2 shown]
	buffer_store_dword v0, off, s[96:99], 0 offset:68 ; 4-byte Folded Spill
	s_nop 0
	buffer_store_dword v1, off, s[96:99], 0 offset:72 ; 4-byte Folded Spill
	global_load_dwordx4 v[1:4], v[68:69], off offset:32
	s_nop 0
	global_load_dwordx4 v[5:8], v[68:69], off offset:48
	s_waitcnt vmcnt(1)
	v_and_b32_e32 v0, 1, v1
	buffer_store_dword v0, off, s[96:99], 0 offset:36 ; 4-byte Folded Spill
	v_lshlrev_b32_e32 v0, 2, v1
	buffer_store_dword v0, off, s[96:99], 0 offset:744 ; 4-byte Folded Spill
	v_and_b32_e32 v0, 1, v2
	buffer_store_dword v0, off, s[96:99], 0 offset:40 ; 4-byte Folded Spill
	v_lshlrev_b32_e32 v0, 2, v2
	buffer_store_dword v0, off, s[96:99], 0 offset:748 ; 4-byte Folded Spill
	;; [unrolled: 4-line block ×4, first 2 shown]
	s_waitcnt vmcnt(8)
	v_and_b32_e32 v0, 1, v5
	buffer_store_dword v0, off, s[96:99], 0 offset:52 ; 4-byte Folded Spill
	v_lshlrev_b32_e32 v0, 2, v5
	buffer_store_dword v0, off, s[96:99], 0 offset:760 ; 4-byte Folded Spill
	v_and_b32_e32 v0, 1, v6
	buffer_store_dword v0, off, s[96:99], 0 offset:56 ; 4-byte Folded Spill
	v_lshlrev_b32_e32 v0, 2, v6
	buffer_store_dword v0, off, s[96:99], 0 offset:764 ; 4-byte Folded Spill
	;; [unrolled: 4-line block ×4, first 2 shown]
	v_not_b32_e32 v0, v21
	v_mov_b32_e32 v21, v50
	v_cmp_gt_i64_e64 s[0:1], 0, v[20:21]
	buffer_store_dword v0, off, s[96:99], 0 offset:132 ; 4-byte Folded Spill
	v_writelane_b32 v124, s0, 6
	v_not_b32_e32 v0, v21
	v_mov_b32_e32 v21, v93
	v_writelane_b32 v124, s1, 7
	v_cmp_gt_i64_e64 s[0:1], 0, v[21:22]
	buffer_store_dword v0, off, s[96:99], 0 offset:136 ; 4-byte Folded Spill
	v_writelane_b32 v124, s0, 8
	v_not_b32_e32 v0, v22
	v_mov_b32_e32 v22, v93
	v_writelane_b32 v124, s1, 9
	;; [unrolled: 6-line block ×12, first 2 shown]
	v_cmp_gt_i64_e64 s[0:1], 0, v[32:33]
	v_lshlrev_b32_e32 v63, 30, v8
	v_lshlrev_b32_e32 v65, 29, v8
	;; [unrolled: 1-line block ×8, first 2 shown]
	v_writelane_b32 v124, s0, 30
	v_mov_b32_e32 v8, v93
	v_writelane_b32 v124, s1, 31
	v_cmp_gt_i64_e64 s[0:1], 0, v[8:9]
	buffer_store_dword v0, off, s[96:99], 0 offset:180 ; 4-byte Folded Spill
	v_not_b32_e32 v0, v33
	buffer_store_dword v0, off, s[96:99], 0 offset:184 ; 4-byte Folded Spill
	v_writelane_b32 v124, s0, 32
	v_not_b32_e32 v0, v9
	v_mov_b32_e32 v9, v93
	v_writelane_b32 v124, s1, 33
	v_cmp_gt_i64_e64 s[0:1], 0, v[9:10]
	buffer_store_dword v0, off, s[96:99], 0 offset:188 ; 4-byte Folded Spill
	v_writelane_b32 v124, s0, 34
	v_not_b32_e32 v0, v10
	v_mov_b32_e32 v10, v93
	v_writelane_b32 v124, s1, 35
	v_cmp_gt_i64_e64 s[0:1], 0, v[10:11]
	;; [unrolled: 6-line block ×9, first 2 shown]
	v_mov_b32_e32 v9, v36
	v_writelane_b32 v124, s0, 50
	v_writelane_b32 v124, s1, 51
	v_cmp_gt_i64_e64 s[0:1], 0, v[8:9]
	buffer_store_dword v0, off, s[96:99], 0 offset:220 ; 4-byte Folded Spill
	v_not_b32_e32 v0, v18
	buffer_store_dword v0, off, s[96:99], 0 offset:224 ; 4-byte Folded Spill
	v_writelane_b32 v124, s0, 52
	v_not_b32_e32 v0, v9
	v_mov_b32_e32 v10, v38
	v_mov_b32_e32 v9, v93
	v_writelane_b32 v124, s1, 53
	v_cmp_gt_i64_e64 s[0:1], 0, v[9:10]
	buffer_store_dword v0, off, s[96:99], 0 offset:228 ; 4-byte Folded Spill
	v_writelane_b32 v124, s0, 54
	v_not_b32_e32 v0, v10
	v_mov_b32_e32 v11, v40
	v_mov_b32_e32 v10, v93
	v_writelane_b32 v124, s1, 55
	v_cmp_gt_i64_e64 s[0:1], 0, v[10:11]
	;; [unrolled: 7-line block ×3, first 2 shown]
	v_mov_b32_e32 v9, v46
	v_writelane_b32 v124, s0, 58
	v_writelane_b32 v124, s1, 59
	v_cmp_gt_i64_e64 s[0:1], 0, v[8:9]
	buffer_store_dword v0, off, s[96:99], 0 offset:236 ; 4-byte Folded Spill
	v_not_b32_e32 v0, v12
	buffer_store_dword v0, off, s[96:99], 0 offset:240 ; 4-byte Folded Spill
	v_writelane_b32 v124, s0, 60
	v_not_b32_e32 v0, v9
	v_mov_b32_e32 v9, v44
	v_writelane_b32 v124, s1, 61
	v_cmp_gt_i64_e64 s[0:1], 0, v[8:9]
	buffer_store_dword v0, off, s[96:99], 0 offset:244 ; 4-byte Folded Spill
	v_writelane_b32 v124, s0, 62
	v_not_b32_e32 v0, v9
	v_mov_b32_e32 v9, v48
	v_writelane_b32 v124, s1, 63
	v_cmp_gt_i64_e64 s[0:1], 0, v[8:9]
	buffer_store_dword v0, off, s[96:99], 0 offset:248 ; 4-byte Folded Spill
	v_writelane_b32 v125, s0, 0
	v_not_b32_e32 v0, v9
	v_mov_b32_e32 v12, v19
	v_writelane_b32 v125, s1, 1
	buffer_store_dword v0, off, s[96:99], 0 offset:252 ; 4-byte Folded Spill
	v_cmp_gt_i64_e64 s[0:1], 0, v[11:12]
	v_not_b32_e32 v0, v12
	v_mov_b32_e32 v9, v119
	buffer_store_dword v0, off, s[96:99], 0 offset:256 ; 4-byte Folded Spill
	v_not_b32_e32 v0, v9
	v_writelane_b32 v125, s0, 2
	buffer_store_dword v0, off, s[96:99], 0 offset:260 ; 4-byte Folded Spill
	v_writelane_b32 v125, s1, 3
	v_cmp_gt_i64_e64 s[0:1], 0, v[8:9]
	buffer_load_dword v8, off, s[96:99], 0 offset:124 ; 4-byte Folded Reload
	buffer_load_dword v9, off, s[96:99], 0 offset:128 ; 4-byte Folded Reload
	v_writelane_b32 v125, s0, 4
	v_mov_b32_e32 v119, v93
	v_writelane_b32 v125, s1, 5
	v_cmp_gt_i64_e64 s[0:1], 0, v[119:120]
	s_waitcnt vmcnt(1)
	v_mov_b32_e32 v8, v93
	v_writelane_b32 v125, s0, 6
	v_writelane_b32 v125, s1, 7
	v_mov_b32_e32 v33, v93
	v_lshlrev_b32_e32 v85, 30, v1
	v_lshlrev_b32_e32 v86, 29, v1
	;; [unrolled: 1-line block ×7, first 2 shown]
	v_not_b32_e32 v119, v120
	v_mov_b32_e32 v120, v93
	v_lshlrev_b32_e32 v79, 23, v1
	v_lshlrev_b32_e32 v122, 30, v2
	;; [unrolled: 1-line block ×22, first 2 shown]
	v_mov_b32_e32 v10, v68
	v_lshlrev_b32_e32 v118, 26, v4
	v_lshlrev_b32_e32 v123, 25, v4
	;; [unrolled: 1-line block ×11, first 2 shown]
	v_mov_b32_e32 v36, v93
	v_lshlrev_b32_e32 v98, 23, v5
	v_lshlrev_b32_e32 v5, 30, v6
	;; [unrolled: 1-line block ×16, first 2 shown]
	v_not_b32_e32 v29, v69
	v_not_b32_e32 v30, v71
	;; [unrolled: 1-line block ×4, first 2 shown]
	v_mov_b32_e32 v38, v93
	v_mov_b32_e32 v40, v93
	;; [unrolled: 1-line block ×3, first 2 shown]
	v_not_b32_e32 v12, v37
	v_not_b32_e32 v14, v113
	;; [unrolled: 1-line block ×4, first 2 shown]
	s_waitcnt vmcnt(0)
	v_not_b32_e32 v0, v9
	buffer_store_dword v0, off, s[96:99], 0 offset:124 ; 4-byte Folded Spill
	v_cmp_gt_i64_e64 s[0:1], 0, v[8:9]
	buffer_load_dword v8, off, s[96:99], 0 offset:116 ; 4-byte Folded Reload
	buffer_load_dword v9, off, s[96:99], 0 offset:120 ; 4-byte Folded Reload
	v_writelane_b32 v125, s0, 8
	s_waitcnt vmcnt(1)
	v_mov_b32_e32 v8, v93
	v_writelane_b32 v125, s1, 9
	v_mov_b32_e32 v48, v93
	v_cmp_gt_i64_e64 s[34:35], 0, v[48:49]
	v_not_b32_e32 v20, v49
	v_mov_b32_e32 v50, v93
	v_cmp_gt_i64_e64 s[36:37], 0, v[50:51]
	v_not_b32_e32 v21, v51
	v_not_b32_e32 v22, v53
	;; [unrolled: 1-line block ×4, first 2 shown]
	v_mov_b32_e32 v44, v93
	v_cmp_gt_i64_e64 s[28:29], 0, v[44:45]
	v_not_b32_e32 v18, v45
	v_mov_b32_e32 v46, v93
	v_cmp_gt_i64_e64 s[30:31], 0, v[46:47]
	v_not_b32_e32 v19, v47
	v_not_b32_e32 v13, v98
	v_mov_b32_e32 v68, v93
	v_cmp_gt_i64_e64 s[58:59], 0, v[68:69]
	v_not_b32_e32 v25, v59
	v_not_b32_e32 v24, v57
	;; [unrolled: 1-line block ×5, first 2 shown]
	v_ashrrev_i32_e32 v13, 31, v13
	s_waitcnt vmcnt(0)
	v_not_b32_e32 v0, v9
	buffer_store_dword v0, off, s[96:99], 0 offset:116 ; 4-byte Folded Spill
	v_cmp_gt_i64_e64 s[0:1], 0, v[8:9]
	buffer_load_dword v8, off, s[96:99], 0 offset:108 ; 4-byte Folded Reload
	buffer_load_dword v9, off, s[96:99], 0 offset:112 ; 4-byte Folded Reload
	v_writelane_b32 v125, s0, 10
	s_waitcnt vmcnt(1)
	v_mov_b32_e32 v8, v93
	v_writelane_b32 v125, s1, 11
	s_waitcnt vmcnt(0)
	v_not_b32_e32 v0, v9
	buffer_store_dword v0, off, s[96:99], 0 offset:108 ; 4-byte Folded Spill
	v_cmp_gt_i64_e64 s[0:1], 0, v[8:9]
	buffer_load_dword v8, off, s[96:99], 0 offset:100 ; 4-byte Folded Reload
	buffer_load_dword v9, off, s[96:99], 0 offset:104 ; 4-byte Folded Reload
	v_writelane_b32 v125, s0, 12
	s_waitcnt vmcnt(1)
	v_mov_b32_e32 v8, v93
	v_writelane_b32 v125, s1, 13
	;; [unrolled: 10-line block ×5, first 2 shown]
	s_waitcnt vmcnt(0)
	v_not_b32_e32 v0, v9
	buffer_store_dword v0, off, s[96:99], 0 offset:76 ; 4-byte Folded Spill
	v_not_b32_e32 v0, v34
	buffer_store_dword v0, off, s[96:99], 0 offset:264 ; 4-byte Folded Spill
	v_cmp_gt_i64_e64 s[0:1], 0, v[8:9]
	buffer_load_dword v8, off, s[96:99], 0 offset:68 ; 4-byte Folded Reload
	buffer_load_dword v9, off, s[96:99], 0 offset:72 ; 4-byte Folded Reload
	v_writelane_b32 v125, s0, 20
	v_writelane_b32 v125, s1, 21
	v_cmp_gt_i64_e64 s[0:1], 0, v[33:34]
	s_waitcnt vmcnt(1)
	v_mov_b32_e32 v8, v93
	v_writelane_b32 v125, s0, 22
	v_writelane_b32 v125, s1, 23
	v_mov_b32_e32 v34, v93
	v_not_b32_e32 v33, v114
	buffer_load_dword v11, off, s[96:99], 0 offset:132 ; 4-byte Folded Reload
	s_waitcnt vmcnt(1)
	v_cmp_gt_i64_e64 s[0:1], 0, v[8:9]
	v_not_b32_e32 v0, v9
	v_writelane_b32 v125, s0, 24
	v_mov_b32_e32 v9, v117
	v_writelane_b32 v125, s1, 25
	v_cmp_gt_i64_e64 s[0:1], 0, v[8:9]
	buffer_store_dword v0, off, s[96:99], 0 offset:68 ; 4-byte Folded Spill
	v_writelane_b32 v125, s0, 26
	v_not_b32_e32 v0, v9
	v_mov_b32_e32 v9, v115
	v_writelane_b32 v125, s1, 27
	v_cmp_gt_i64_e64 s[0:1], 0, v[8:9]
	buffer_store_dword v0, off, s[96:99], 0 offset:268 ; 4-byte Folded Spill
	v_writelane_b32 v125, s0, 28
	v_not_b32_e32 v0, v9
	;; [unrolled: 6-line block ×20, first 2 shown]
	v_mov_b32_e32 v9, v52
	v_writelane_b32 v126, s1, 1
	v_cmp_gt_i64_e64 s[0:1], 0, v[8:9]
	v_mov_b32_e32 v84, v93
	v_writelane_b32 v126, s0, 2
	v_writelane_b32 v126, s1, 3
	v_cmp_gt_i64_e64 s[0:1], 0, v[84:85]
	buffer_store_dword v0, off, s[96:99], 0 offset:344 ; 4-byte Folded Spill
	v_not_b32_e32 v0, v9
	buffer_store_dword v0, off, s[96:99], 0 offset:348 ; 4-byte Folded Spill
	v_writelane_b32 v126, s0, 4
	v_not_b32_e32 v0, v85
	v_mov_b32_e32 v85, v93
	v_writelane_b32 v126, s1, 5
	v_cmp_gt_i64_e64 s[0:1], 0, v[85:86]
	v_mov_b32_e32 v72, v93
	v_writelane_b32 v126, s0, 6
	v_writelane_b32 v126, s1, 7
	v_cmp_gt_i64_e64 s[0:1], 0, v[72:73]
	v_mov_b32_e32 v74, v93
	v_writelane_b32 v126, s0, 8
	buffer_store_dword v0, off, s[96:99], 0 offset:352 ; 4-byte Folded Spill
	v_not_b32_e32 v0, v86
	v_writelane_b32 v126, s1, 9
	v_cmp_gt_i64_e64 s[0:1], 0, v[74:75]
	buffer_store_dword v0, off, s[96:99], 0 offset:356 ; 4-byte Folded Spill
	v_not_b32_e32 v0, v73
	buffer_store_dword v0, off, s[96:99], 0 offset:360 ; 4-byte Folded Spill
	v_writelane_b32 v126, s0, 10
	v_not_b32_e32 v0, v75
	v_mov_b32_e32 v75, v93
	v_writelane_b32 v126, s1, 11
	v_cmp_gt_i64_e64 s[0:1], 0, v[75:76]
	v_mov_b32_e32 v77, v93
	v_writelane_b32 v126, s0, 12
	v_writelane_b32 v126, s1, 13
	v_cmp_gt_i64_e64 s[0:1], 0, v[77:78]
	buffer_store_dword v0, off, s[96:99], 0 offset:364 ; 4-byte Folded Spill
	v_writelane_b32 v126, s0, 14
	v_writelane_b32 v126, s1, 15
	v_cmp_gt_i64_e64 s[0:1], 0, v[120:121]
	v_not_b32_e32 v0, v76
	buffer_store_dword v0, off, s[96:99], 0 offset:368 ; 4-byte Folded Spill
	v_not_b32_e32 v0, v78
	v_writelane_b32 v126, s0, 16
	v_mov_b32_e32 v78, v93
	v_writelane_b32 v126, s1, 17
	v_cmp_gt_i64_e64 s[0:1], 0, v[78:79]
	buffer_store_dword v0, off, s[96:99], 0 offset:372 ; 4-byte Folded Spill
	v_not_b32_e32 v0, v121
	v_writelane_b32 v126, s0, 18
	v_mov_b32_e32 v121, v93
	v_writelane_b32 v126, s1, 19
	v_cmp_gt_i64_e64 s[0:1], 0, v[121:122]
	;; [unrolled: 6-line block ×3, first 2 shown]
	buffer_store_dword v0, off, s[96:99], 0 offset:380 ; 4-byte Folded Spill
	v_not_b32_e32 v0, v122
	buffer_store_dword v0, off, s[96:99], 0 offset:384 ; 4-byte Folded Spill
	v_writelane_b32 v126, s0, 22
	v_not_b32_e32 v0, v80
	v_mov_b32_e32 v80, v93
	v_writelane_b32 v126, s1, 23
	v_cmp_gt_i64_e64 s[0:1], 0, v[80:81]
	buffer_store_dword v0, off, s[96:99], 0 offset:388 ; 4-byte Folded Spill
	v_writelane_b32 v126, s0, 24
	v_not_b32_e32 v0, v81
	v_mov_b32_e32 v81, v93
	v_writelane_b32 v126, s1, 25
	v_cmp_gt_i64_e64 s[0:1], 0, v[81:82]
	v_mov_b32_e32 v86, v93
	v_writelane_b32 v126, s0, 26
	v_writelane_b32 v126, s1, 27
	v_cmp_gt_i64_e64 s[0:1], 0, v[86:87]
	buffer_store_dword v0, off, s[96:99], 0 offset:392 ; 4-byte Folded Spill
	v_not_b32_e32 v0, v82
	buffer_store_dword v0, off, s[96:99], 0 offset:396 ; 4-byte Folded Spill
	v_writelane_b32 v126, s0, 28
	v_not_b32_e32 v0, v87
	v_mov_b32_e32 v87, v93
	v_writelane_b32 v126, s1, 29
	v_cmp_gt_i64_e64 s[0:1], 0, v[87:88]
	buffer_store_dword v0, off, s[96:99], 0 offset:400 ; 4-byte Folded Spill
	v_writelane_b32 v126, s0, 30
	v_not_b32_e32 v0, v88
	v_mov_b32_e32 v88, v93
	v_writelane_b32 v126, s1, 31
	v_cmp_gt_i64_e64 s[0:1], 0, v[88:89]
	v_mov_b32_e32 v82, v93
	v_writelane_b32 v126, s0, 32
	v_writelane_b32 v126, s1, 33
	v_cmp_gt_i64_e64 s[0:1], 0, v[82:83]
	v_mov_b32_e32 v111, v93
	v_writelane_b32 v126, s0, 34
	v_writelane_b32 v126, s1, 35
	v_cmp_gt_i64_e64 s[0:1], 0, v[111:112]
	v_mov_b32_e32 v56, v93
	v_cmp_gt_i64_e64 s[42:43], 0, v[56:57]
	buffer_load_dword v56, off, s[96:99], 0 offset:296 ; 4-byte Folded Reload
	v_writelane_b32 v126, s0, 36
	buffer_store_dword v0, off, s[96:99], 0 offset:404 ; 4-byte Folded Spill
	v_not_b32_e32 v0, v89
	v_mov_b32_e32 v89, v93
	v_writelane_b32 v126, s1, 37
	v_cmp_gt_i64_e64 s[0:1], 0, v[89:90]
	v_mov_b32_e32 v99, v93
	v_writelane_b32 v126, s0, 38
	v_writelane_b32 v126, s1, 39
	v_cmp_gt_i64_e64 s[0:1], 0, v[99:100]
	v_mov_b32_e32 v94, v93
	v_writelane_b32 v126, s0, 40
	buffer_store_dword v0, off, s[96:99], 0 offset:408 ; 4-byte Folded Spill
	v_not_b32_e32 v0, v83
	v_writelane_b32 v126, s1, 41
	v_cmp_gt_i64_e64 s[0:1], 0, v[94:95]
	buffer_store_dword v0, off, s[96:99], 0 offset:412 ; 4-byte Folded Spill
	v_not_b32_e32 v0, v112
	buffer_store_dword v0, off, s[96:99], 0 offset:416 ; 4-byte Folded Spill
	v_not_b32_e32 v0, v90
	v_writelane_b32 v126, s0, 42
	v_mov_b32_e32 v90, v93
	v_writelane_b32 v126, s1, 43
	v_cmp_gt_i64_e64 s[0:1], 0, v[90:91]
	buffer_store_dword v0, off, s[96:99], 0 offset:420 ; 4-byte Folded Spill
	v_not_b32_e32 v0, v100
	buffer_store_dword v0, off, s[96:99], 0 offset:424 ; 4-byte Folded Spill
	v_not_b32_e32 v0, v95
	v_writelane_b32 v126, s0, 44
	v_mov_b32_e32 v95, v93
	v_writelane_b32 v126, s1, 45
	v_cmp_gt_i64_e64 s[0:1], 0, v[95:96]
	buffer_store_dword v0, off, s[96:99], 0 offset:428 ; 4-byte Folded Spill
	v_not_b32_e32 v0, v91
	buffer_store_dword v0, off, s[96:99], 0 offset:432 ; 4-byte Folded Spill
	v_writelane_b32 v126, s0, 46
	v_not_b32_e32 v0, v96
	v_mov_b32_e32 v96, v93
	v_writelane_b32 v126, s1, 47
	v_cmp_gt_i64_e64 s[0:1], 0, v[96:97]
	v_mov_b32_e32 v101, v93
	v_writelane_b32 v126, s0, 48
	v_writelane_b32 v126, s1, 49
	v_cmp_gt_i64_e64 s[0:1], 0, v[101:102]
	v_mov_b32_e32 v103, v93
	v_writelane_b32 v126, s0, 50
	;; [unrolled: 4-line block ×3, first 2 shown]
	buffer_store_dword v0, off, s[96:99], 0 offset:436 ; 4-byte Folded Spill
	v_not_b32_e32 v0, v97
	v_writelane_b32 v126, s1, 53
	v_cmp_gt_i64_e64 s[0:1], 0, v[107:108]
	buffer_store_dword v0, off, s[96:99], 0 offset:440 ; 4-byte Folded Spill
	v_not_b32_e32 v0, v102
	buffer_store_dword v0, off, s[96:99], 0 offset:444 ; 4-byte Folded Spill
	v_not_b32_e32 v0, v104
	v_writelane_b32 v126, s0, 54
	v_mov_b32_e32 v104, v93
	v_writelane_b32 v126, s1, 55
	v_cmp_gt_i64_e64 s[0:1], 0, v[104:105]
	v_mov_b32_e32 v9, v93
	v_writelane_b32 v126, s0, 56
	v_writelane_b32 v126, s1, 57
	v_cmp_gt_i64_e64 s[0:1], 0, v[9:10]
	v_mov_b32_e32 v117, v93
	v_writelane_b32 v126, s0, 58
	;; [unrolled: 4-line block ×3, first 2 shown]
	v_writelane_b32 v126, s1, 61
	v_cmp_gt_i64_e64 s[0:1], 0, v[122:123]
	v_not_b32_e32 v8, v108
	v_writelane_b32 v126, s0, 62
	v_mov_b32_e32 v108, v93
	v_writelane_b32 v126, s1, 63
	v_cmp_gt_i64_e64 s[0:1], 0, v[108:109]
	v_not_b32_e32 v82, v10
	v_writelane_b32 v127, s0, 0
	v_mov_b32_e32 v10, v2
	v_writelane_b32 v127, s1, 1
	v_cmp_gt_i64_e64 s[0:1], 0, v[9:10]
	buffer_store_dword v0, off, s[96:99], 0 offset:448 ; 4-byte Folded Spill
	v_mov_b32_e32 v0, v93
	v_writelane_b32 v127, s0, 2
	v_writelane_b32 v127, s1, 3
	v_cmp_gt_i64_e64 s[0:1], 0, v[0:1]
	v_mov_b32_e32 v2, v93
	v_writelane_b32 v127, s0, 4
	v_writelane_b32 v127, s1, 5
	v_cmp_gt_i64_e64 s[0:1], 0, v[2:3]
	;; [unrolled: 4-line block ×3, first 2 shown]
	v_not_b32_e32 v85, v109
	v_mov_b32_e32 v109, v93
	v_writelane_b32 v127, s0, 8
	v_writelane_b32 v127, s1, 9
	v_cmp_gt_i64_e64 s[0:1], 0, v[109:110]
	v_not_b32_e32 v0, v1
	v_writelane_b32 v127, s0, 10
	v_writelane_b32 v127, s1, 11
	v_cmp_gt_i64_e64 s[0:1], 0, v[34:35]
	v_not_b32_e32 v1, v3
	v_writelane_b32 v127, s0, 12
	v_mov_b32_e32 v3, v93
	v_writelane_b32 v127, s1, 13
	v_cmp_gt_i64_e64 s[0:1], 0, v[3:4]
	v_mov_b32_e32 v97, v93
	v_writelane_b32 v127, s0, 14
	v_writelane_b32 v127, s1, 15
	v_cmp_gt_i64_e64 s[0:1], 0, v[36:37]
	v_not_b32_e32 v3, v4
	v_writelane_b32 v127, s0, 16
	v_writelane_b32 v127, s1, 17
	v_cmp_gt_i64_e64 s[0:1], 0, v[97:98]
	v_mov_b32_e32 v4, v93
	v_writelane_b32 v127, s0, 18
	v_writelane_b32 v127, s1, 19
	v_cmp_gt_i64_e64 s[0:1], 0, v[4:5]
	v_not_b32_e32 v4, v5
	v_mov_b32_e32 v5, v93
	v_cmp_gt_i64_e64 s[44:45], 0, v[5:6]
	v_not_b32_e32 v5, v6
	v_mov_b32_e32 v6, v93
	v_cmp_gt_i64_e64 s[50:51], 0, v[6:7]
	v_not_b32_e32 v6, v7
	v_ashrrev_i32_e32 v6, 31, v6
	buffer_store_dword v6, off, s[96:99], 0 offset:884 ; 4-byte Folded Spill
	v_ashrrev_i32_e32 v6, 31, v29
	buffer_store_dword v6, off, s[96:99], 0 offset:776 ; 4-byte Folded Spill
	;; [unrolled: 2-line block ×5, first 2 shown]
	v_ashrrev_i32_e32 v6, 31, v33
	v_not_b32_e32 v2, v92
	buffer_store_dword v6, off, s[96:99], 0 offset:792 ; 4-byte Folded Spill
	buffer_load_dword v6, off, s[96:99], 0 offset:16 ; 4-byte Folded Reload
	s_waitcnt vmcnt(19)
	v_ashrrev_i32_e32 v92, 31, v56
	buffer_load_dword v56, off, s[96:99], 0 offset:300 ; 4-byte Folded Reload
	buffer_load_dword v34, off, s[96:99], 0 ; 4-byte Folded Reload
	v_mov_b32_e32 v112, v93
	v_writelane_b32 v127, s0, 20
	v_writelane_b32 v127, s1, 21
	v_cmp_gt_i64_e64 s[0:1], 0, v[112:113]
	v_not_b32_e32 v9, v110
	v_writelane_b32 v127, s0, 22
	v_writelane_b32 v127, s1, 23
	v_cmp_gt_i64_e64 s[0:1], 0, v[38:39]
	v_not_b32_e32 v86, v10
	;; [unrolled: 4-line block ×3, first 2 shown]
	v_writelane_b32 v127, s0, 26
	v_writelane_b32 v127, s1, 27
	v_cmp_gt_i64_e64 s[0:1], 0, v[42:43]
	v_ashrrev_i32_e32 v9, 31, v9
	v_writelane_b32 v127, s0, 28
	buffer_store_dword v9, off, s[96:99], 0 offset:820 ; 4-byte Folded Spill
	v_ashrrev_i32_e32 v9, 31, v10
	v_writelane_b32 v127, s1, 29
	v_not_b32_e32 v7, v63
	s_movk_i32 s0, 0x140
	buffer_store_dword v9, off, s[96:99], 0 offset:824 ; 4-byte Folded Spill
	v_ashrrev_i32_e32 v9, 31, v12
	buffer_store_dword v9, off, s[96:99], 0 offset:828 ; 4-byte Folded Spill
	v_ashrrev_i32_e32 v9, 31, v14
	v_ashrrev_i32_e32 v14, 31, v7
	buffer_load_dword v7, off, s[96:99], 0 offset:4 ; 4-byte Folded Reload
	v_mov_b32_e32 v52, v93
	v_cmp_gt_i64_e64 s[38:39], 0, v[52:53]
	v_mov_b32_e32 v54, v93
	v_cmp_gt_i64_e64 s[40:41], 0, v[54:55]
	v_not_b32_e32 v84, v123
	v_mov_b32_e32 v58, v93
	v_mov_b32_e32 v70, v93
	v_cmp_gt_i64_e64 s[46:47], 0, v[58:59]
	v_cmp_gt_i64_e64 s[60:61], 0, v[70:71]
	v_mov_b32_e32 v60, v93
	v_cmp_gt_i64_e64 s[48:49], 0, v[60:61]
	v_mov_b32_e32 v62, v93
	;; [unrolled: 2-line block ×3, first 2 shown]
	v_cmp_gt_i64_e64 s[54:55], 0, v[64:65]
	v_not_b32_e32 v81, v105
	v_mov_b32_e32 v105, v93
	v_cmp_gt_i64_e64 s[62:63], 0, v[105:106]
	v_mov_b32_e32 v66, v93
	v_cmp_gt_i64_e64 s[56:57], 0, v[66:67]
	;; [unrolled: 2-line block ×4, first 2 shown]
	v_not_b32_e32 v83, v118
	v_ashrrev_i32_e32 v109, 31, v119
	buffer_store_dword v9, off, s[96:99], 0 offset:832 ; 4-byte Folded Spill
	v_ashrrev_i32_e32 v9, 31, v15
	buffer_store_dword v9, off, s[96:99], 0 offset:836 ; 4-byte Folded Spill
	;; [unrolled: 2-line block ×11, first 2 shown]
	s_waitcnt vmcnt(17)
	v_cmp_eq_u32_e64 s[72:73], 1, v6
	v_add_co_u32_e64 v6, s[6:7], -1, v6
	s_waitcnt vmcnt(16)
	v_ashrrev_i32_e32 v94, 31, v56
	buffer_load_dword v56, off, s[96:99], 0 offset:304 ; 4-byte Folded Reload
	v_ashrrev_i32_e32 v9, 31, v25
	buffer_store_dword v9, off, s[96:99], 0 offset:876 ; 4-byte Folded Spill
	v_ashrrev_i32_e32 v9, 31, v26
	v_ashrrev_i32_e32 v82, 31, v82
	;; [unrolled: 1-line block ×8, first 2 shown]
	buffer_store_dword v9, off, s[96:99], 0 offset:880 ; 4-byte Folded Spill
	v_mov_b32_e32 v31, v1
	v_ashrrev_i32_e32 v8, 31, v8
	v_ashrrev_i32_e32 v81, 31, v81
	;; [unrolled: 1-line block ×7, first 2 shown]
	v_mov_b32_e32 v29, v8
	v_mov_b32_e32 v18, v81
	;; [unrolled: 1-line block ×3, first 2 shown]
	buffer_load_dword v59, off, s[96:99], 0 offset:392 ; 4-byte Folded Reload
	buffer_load_dword v58, off, s[96:99], 0 offset:388 ; 4-byte Folded Reload
	;; [unrolled: 1-line block ×3, first 2 shown]
	s_waitcnt vmcnt(5)
	v_ashrrev_i32_e32 v95, 31, v56
	buffer_load_dword v56, off, s[96:99], 0 offset:308 ; 4-byte Folded Reload
	s_waitcnt vmcnt(3)
	v_ashrrev_i32_e32 v60, 31, v59
	buffer_store_dword v6, off, s[96:99], 0 offset:308 ; 4-byte Folded Spill
	buffer_load_dword v6, off, s[96:99], 0 offset:8 ; 4-byte Folded Reload
	v_cmp_gt_u32_e64 s[68:69], s0, v34
	v_lshlrev_b32_e32 v34, 2, v34
	buffer_store_dword v34, off, s[96:99], 0 offset:708 ; 4-byte Folded Spill
	v_ashrrev_i32_e32 v34, 31, v11
	buffer_load_dword v11, off, s[96:99], 0 offset:136 ; 4-byte Folded Reload
	s_waitcnt vmcnt(6)
	v_ashrrev_i32_e32 v58, 31, v58
	v_cmp_eq_u32_e64 s[70:71], 1, v7
	v_mov_b32_e32 v24, v58
	buffer_load_dword v59, off, s[96:99], 0 offset:396 ; 4-byte Folded Reload
	s_waitcnt vmcnt(6)
	v_ashrrev_i32_e32 v57, 31, v57
	v_mov_b32_e32 v15, v57
	s_waitcnt vmcnt(5)
	v_ashrrev_i32_e32 v99, 31, v56
	buffer_load_dword v56, off, s[96:99], 0 offset:312 ; 4-byte Folded Reload
	s_waitcnt vmcnt(4)
	v_cmp_eq_u32_e64 s[74:75], 1, v6
	v_add_co_u32_e64 v6, s[8:9], -1, v6
	s_waitcnt vmcnt(2)
	v_ashrrev_i32_e32 v35, 31, v11
	buffer_load_dword v11, off, s[96:99], 0 offset:140 ; 4-byte Folded Reload
	s_waitcnt vmcnt(2)
	v_ashrrev_i32_e32 v61, 31, v59
	buffer_load_dword v59, off, s[96:99], 0 offset:400 ; 4-byte Folded Reload
	v_mov_b32_e32 v25, v61
	buffer_store_dword v6, off, s[96:99], 0 offset:312 ; 4-byte Folded Spill
	buffer_load_dword v6, off, s[96:99], 0 offset:12 ; 4-byte Folded Reload
	s_waitcnt vmcnt(4)
	v_ashrrev_i32_e32 v100, 31, v56
	buffer_load_dword v56, off, s[96:99], 0 offset:316 ; 4-byte Folded Reload
	s_waitcnt vmcnt(4)
	v_ashrrev_i32_e32 v36, 31, v11
	;; [unrolled: 3-line block ×3, first 2 shown]
	buffer_load_dword v59, off, s[96:99], 0 offset:404 ; 4-byte Folded Reload
	s_waitcnt vmcnt(3)
	v_cmp_eq_u32_e64 s[76:77], 1, v6
	v_add_co_u32_e64 v6, s[10:11], -1, v6
	buffer_store_dword v6, off, s[96:99], 0 offset:316 ; 4-byte Folded Spill
	buffer_load_dword v6, off, s[96:99], 0 offset:20 ; 4-byte Folded Reload
	s_waitcnt vmcnt(4)
	v_ashrrev_i32_e32 v103, 31, v56
	buffer_load_dword v56, off, s[96:99], 0 offset:320 ; 4-byte Folded Reload
	s_waitcnt vmcnt(4)
	v_ashrrev_i32_e32 v37, 31, v11
	;; [unrolled: 3-line block ×3, first 2 shown]
	buffer_load_dword v59, off, s[96:99], 0 offset:408 ; 4-byte Folded Reload
	v_mov_b32_e32 v26, v63
	s_waitcnt vmcnt(3)
	v_cmp_eq_u32_e64 s[78:79], 1, v6
	v_add_co_u32_e64 v6, s[12:13], -1, v6
	buffer_store_dword v6, off, s[96:99], 0 offset:320 ; 4-byte Folded Spill
	buffer_load_dword v6, off, s[96:99], 0 offset:24 ; 4-byte Folded Reload
	s_waitcnt vmcnt(4)
	v_ashrrev_i32_e32 v104, 31, v56
	buffer_load_dword v56, off, s[96:99], 0 offset:324 ; 4-byte Folded Reload
	s_waitcnt vmcnt(4)
	v_ashrrev_i32_e32 v38, 31, v11
	;; [unrolled: 3-line block ×3, first 2 shown]
	buffer_load_dword v59, off, s[96:99], 0 offset:412 ; 4-byte Folded Reload
	v_mov_b32_e32 v16, v64
	s_waitcnt vmcnt(3)
	v_cmp_eq_u32_e64 s[80:81], 1, v6
	v_add_co_u32_e64 v6, s[14:15], -1, v6
	buffer_store_dword v6, off, s[96:99], 0 offset:324 ; 4-byte Folded Spill
	buffer_load_dword v6, off, s[96:99], 0 offset:28 ; 4-byte Folded Reload
	s_waitcnt vmcnt(4)
	v_ashrrev_i32_e32 v105, 31, v56
	buffer_load_dword v56, off, s[96:99], 0 offset:328 ; 4-byte Folded Reload
	s_waitcnt vmcnt(4)
	v_ashrrev_i32_e32 v39, 31, v11
	buffer_load_dword v11, off, s[96:99], 0 offset:156 ; 4-byte Folded Reload
	s_waitcnt vmcnt(4)
	v_ashrrev_i32_e32 v65, 31, v59
	buffer_load_dword v59, off, s[96:99], 0 offset:416 ; 4-byte Folded Reload
	s_waitcnt vmcnt(3)
	v_cmp_eq_u32_e64 s[82:83], 1, v6
	v_add_co_u32_e64 v6, s[16:17], -1, v6
	buffer_store_dword v6, off, s[96:99], 0 offset:328 ; 4-byte Folded Spill
	buffer_load_dword v6, off, s[96:99], 0 offset:32 ; 4-byte Folded Reload
	s_waitcnt vmcnt(4)
	v_ashrrev_i32_e32 v106, 31, v56
	buffer_load_dword v56, off, s[96:99], 0 offset:332 ; 4-byte Folded Reload
	s_waitcnt vmcnt(4)
	v_ashrrev_i32_e32 v40, 31, v11
	buffer_load_dword v11, off, s[96:99], 0 offset:160 ; 4-byte Folded Reload
	s_waitcnt vmcnt(4)
	v_ashrrev_i32_e32 v66, 31, v59
	buffer_load_dword v59, off, s[96:99], 0 offset:420 ; 4-byte Folded Reload
	;; [unrolled: 14-line block ×3, first 2 shown]
	v_mov_b32_e32 v27, v67
	s_waitcnt vmcnt(3)
	v_cmp_eq_u32_e64 s[86:87], 1, v6
	v_add_co_u32_e64 v6, s[20:21], -1, v6
	buffer_store_dword v6, off, s[96:99], 0 offset:336 ; 4-byte Folded Spill
	buffer_load_dword v6, off, s[96:99], 0 offset:40 ; 4-byte Folded Reload
	s_waitcnt vmcnt(4)
	v_ashrrev_i32_e32 v111, 31, v56
	buffer_load_dword v56, off, s[96:99], 0 offset:340 ; 4-byte Folded Reload
	s_waitcnt vmcnt(4)
	v_ashrrev_i32_e32 v42, 31, v11
	;; [unrolled: 3-line block ×3, first 2 shown]
	buffer_load_dword v59, off, s[96:99], 0 offset:428 ; 4-byte Folded Reload
	s_waitcnt vmcnt(3)
	v_cmp_eq_u32_e64 s[88:89], 1, v6
	v_add_co_u32_e64 v6, s[22:23], -1, v6
	buffer_store_dword v6, off, s[96:99], 0 offset:340 ; 4-byte Folded Spill
	buffer_load_dword v6, off, s[96:99], 0 offset:44 ; 4-byte Folded Reload
	s_waitcnt vmcnt(4)
	v_ashrrev_i32_e32 v112, 31, v56
	buffer_load_dword v56, off, s[96:99], 0 offset:344 ; 4-byte Folded Reload
	s_waitcnt vmcnt(4)
	v_ashrrev_i32_e32 v48, 31, v11
	;; [unrolled: 3-line block ×3, first 2 shown]
	buffer_store_dword v59, off, s[96:99], 0 offset:796 ; 4-byte Folded Spill
	buffer_load_dword v59, off, s[96:99], 0 offset:432 ; 4-byte Folded Reload
	s_waitcnt vmcnt(4)
	v_cmp_eq_u32_e64 s[90:91], 1, v6
	v_add_co_u32_e64 v6, s[24:25], -1, v6
	buffer_store_dword v6, off, s[96:99], 0 offset:344 ; 4-byte Folded Spill
	s_waitcnt vmcnt(4)
	v_ashrrev_i32_e32 v113, 31, v56
	buffer_load_dword v56, off, s[96:99], 0 offset:348 ; 4-byte Folded Reload
	s_waitcnt vmcnt(4)
	v_ashrrev_i32_e32 v49, 31, v11
	buffer_load_dword v11, off, s[96:99], 0 offset:176 ; 4-byte Folded Reload
	s_waitcnt vmcnt(3)
	v_ashrrev_i32_e32 v59, 31, v59
	buffer_store_dword v59, off, s[96:99], 0 offset:800 ; 4-byte Folded Spill
	buffer_load_dword v59, off, s[96:99], 0 offset:436 ; 4-byte Folded Reload
	s_waitcnt vmcnt(2)
	v_ashrrev_i32_e32 v50, 31, v11
	buffer_load_dword v11, off, s[96:99], 0 offset:180 ; 4-byte Folded Reload
	buffer_load_dword v6, off, s[96:99], 0 offset:48 ; 4-byte Folded Reload
	v_ashrrev_i32_e32 v114, 31, v56
	buffer_load_dword v56, off, s[96:99], 0 offset:352 ; 4-byte Folded Reload
	s_waitcnt vmcnt(3)
	v_ashrrev_i32_e32 v59, 31, v59
	buffer_store_dword v59, off, s[96:99], 0 offset:804 ; 4-byte Folded Spill
	buffer_load_dword v59, off, s[96:99], 0 offset:440 ; 4-byte Folded Reload
	s_waitcnt vmcnt(4)
	v_ashrrev_i32_e32 v51, 31, v11
	buffer_load_dword v11, off, s[96:99], 0 offset:184 ; 4-byte Folded Reload
	s_waitcnt vmcnt(4)
	v_cmp_eq_u32_e64 s[92:93], 1, v6
	v_add_co_u32_e64 v6, s[26:27], -1, v6
	buffer_store_dword v6, off, s[96:99], 0 offset:348 ; 4-byte Folded Spill
	buffer_load_dword v6, off, s[96:99], 0 offset:52 ; 4-byte Folded Reload
	s_waitcnt vmcnt(5)
	v_ashrrev_i32_e32 v115, 31, v56
	buffer_load_dword v56, off, s[96:99], 0 offset:356 ; 4-byte Folded Reload
	s_waitcnt vmcnt(4)
	v_ashrrev_i32_e32 v59, 31, v59
	buffer_store_dword v59, off, s[96:99], 0 offset:808 ; 4-byte Folded Spill
	buffer_load_dword v59, off, s[96:99], 0 offset:444 ; 4-byte Folded Reload
	s_waitcnt vmcnt(5)
	v_ashrrev_i32_e32 v52, 31, v11
	buffer_load_dword v11, off, s[96:99], 0 offset:188 ; 4-byte Folded Reload
	s_waitcnt vmcnt(4)
	v_cmp_eq_u32_e64 s[94:95], 1, v6
	v_add_co_u32_e64 v6, s[0:1], -1, v6
	buffer_store_dword v6, off, s[96:99], 0 offset:352 ; 4-byte Folded Spill
	buffer_load_dword v6, off, s[96:99], 0 offset:56 ; 4-byte Folded Reload
	v_writelane_b32 v127, s0, 30
	v_writelane_b32 v127, s1, 31
	s_waitcnt vmcnt(5)
	v_ashrrev_i32_e32 v116, 31, v56
	buffer_load_dword v56, off, s[96:99], 0 offset:360 ; 4-byte Folded Reload
	s_waitcnt vmcnt(4)
	v_ashrrev_i32_e32 v59, 31, v59
	buffer_store_dword v59, off, s[96:99], 0 offset:812 ; 4-byte Folded Spill
	buffer_load_dword v59, off, s[96:99], 0 offset:448 ; 4-byte Folded Reload
	s_waitcnt vmcnt(5)
	v_ashrrev_i32_e32 v53, 31, v11
	buffer_load_dword v11, off, s[96:99], 0 offset:192 ; 4-byte Folded Reload
	s_waitcnt vmcnt(4)
	v_cmp_eq_u32_e64 s[0:1], 1, v6
	v_add_co_u32_e64 v6, s[2:3], -1, v6
	buffer_store_dword v6, off, s[96:99], 0 offset:356 ; 4-byte Folded Spill
	buffer_load_dword v6, off, s[96:99], 0 offset:60 ; 4-byte Folded Reload
	v_writelane_b32 v127, s2, 32
	v_writelane_b32 v127, s3, 33
	s_waitcnt vmcnt(5)
	v_ashrrev_i32_e32 v117, 31, v56
	buffer_load_dword v56, off, s[96:99], 0 offset:364 ; 4-byte Folded Reload
	s_waitcnt vmcnt(4)
	v_ashrrev_i32_e32 v59, 31, v59
	buffer_store_dword v59, off, s[96:99], 0 offset:816 ; 4-byte Folded Spill
	v_ashrrev_i32_e32 v59, 31, v28
	s_waitcnt vmcnt(4)
	v_ashrrev_i32_e32 v43, 31, v11
	buffer_load_dword v11, off, s[96:99], 0 offset:196 ; 4-byte Folded Reload
	s_waitcnt vmcnt(3)
	v_cmp_eq_u32_e64 s[2:3], 1, v6
	v_add_co_u32_e64 v6, s[4:5], -1, v6
	buffer_store_dword v6, off, s[96:99], 0 offset:360 ; 4-byte Folded Spill
	buffer_load_dword v6, off, s[96:99], 0 offset:64 ; 4-byte Folded Reload
	v_writelane_b32 v127, s4, 34
	v_writelane_b32 v127, s5, 35
	s_waitcnt vmcnt(4)
	v_ashrrev_i32_e32 v118, 31, v56
	buffer_load_dword v56, off, s[96:99], 0 offset:368 ; 4-byte Folded Reload
	s_waitcnt vmcnt(3)
	v_ashrrev_i32_e32 v54, 31, v11
	buffer_load_dword v11, off, s[96:99], 0 offset:200 ; 4-byte Folded Reload
	s_waitcnt vmcnt(2)
	v_cmp_eq_u32_e64 s[4:5], 1, v6
	v_add_co_u32_e32 v6, vcc, -1, v6
	v_writelane_b32 v127, vcc_lo, 36
	buffer_store_dword v6, off, s[96:99], 0 offset:364 ; 4-byte Folded Spill
	v_writelane_b32 v127, vcc_hi, 37
	v_add_co_u32_e32 v6, vcc, -1, v7
	buffer_store_dword v6, off, s[96:99], 0 offset:368 ; 4-byte Folded Spill
	v_addc_co_u32_e64 v6, vcc, 0, -1, vcc
	s_waitcnt vmcnt(3)
	v_ashrrev_i32_e32 v119, 31, v56
	buffer_load_dword v56, off, s[96:99], 0 offset:372 ; 4-byte Folded Reload
	s_waitcnt vmcnt(3)
	v_ashrrev_i32_e32 v55, 31, v11
	buffer_load_dword v11, off, s[96:99], 0 offset:204 ; 4-byte Folded Reload
	;; [unrolled: 3-line block ×3, first 2 shown]
	v_mov_b32_e32 v22, v120
	buffer_store_dword v6, off, s[96:99], 0 offset:372 ; 4-byte Folded Spill
	v_addc_co_u32_e64 v6, s[6:7], 0, -1, s[6:7]
	buffer_store_dword v6, off, s[96:99], 0 offset:376 ; 4-byte Folded Spill
	v_addc_co_u32_e64 v6, s[6:7], 0, -1, s[8:9]
	s_waitcnt vmcnt(3)
	v_ashrrev_i32_e32 v44, 31, v11
	buffer_load_dword v11, off, s[96:99], 0 offset:208 ; 4-byte Folded Reload
	s_waitcnt vmcnt(3)
	v_ashrrev_i32_e32 v121, 31, v56
	buffer_load_dword v56, off, s[96:99], 0 offset:380 ; 4-byte Folded Reload
	;; [unrolled: 3-line block ×3, first 2 shown]
	s_waitcnt vmcnt(1)
	v_ashrrev_i32_e32 v56, 31, v56
	buffer_store_dword v6, off, s[96:99], 0 offset:380 ; 4-byte Folded Spill
	v_addc_co_u32_e64 v6, s[6:7], 0, -1, s[10:11]
	buffer_store_dword v6, off, s[96:99], 0 offset:384 ; 4-byte Folded Spill
	v_addc_co_u32_e64 v6, s[6:7], 0, -1, s[12:13]
	;; [unrolled: 2-line block ×9, first 2 shown]
	v_readlane_b32 s6, v127, 30
	v_readlane_b32 s7, v127, 31
	buffer_store_dword v6, off, s[96:99], 0 offset:416 ; 4-byte Folded Spill
	v_addc_co_u32_e64 v6, s[6:7], 0, -1, s[6:7]
	v_readlane_b32 s6, v127, 32
	v_readlane_b32 s7, v127, 33
	buffer_store_dword v6, off, s[96:99], 0 offset:420 ; 4-byte Folded Spill
	v_addc_co_u32_e64 v6, s[6:7], 0, -1, s[6:7]
	;; [unrolled: 4-line block ×4, first 2 shown]
	v_readlane_b32 s10, v124, 4
	v_readlane_b32 s12, v124, 6
	;; [unrolled: 1-line block ×8, first 2 shown]
	s_waitcnt vmcnt(13)
	v_ashrrev_i32_e32 v46, 31, v11
	buffer_load_dword v11, off, s[96:99], 0 offset:216 ; 4-byte Folded Reload
	v_readlane_b32 s26, v124, 20
	v_readlane_b32 s11, v124, 5
	;; [unrolled: 1-line block ×10, first 2 shown]
	v_mov_b32_e32 v9, v56
	v_mov_b32_e32 v23, v56
	;; [unrolled: 1-line block ×3, first 2 shown]
	s_waitcnt vmcnt(0)
	v_ashrrev_i32_e32 v47, 31, v11
	buffer_load_dword v11, off, s[96:99], 0 offset:220 ; 4-byte Folded Reload
	s_waitcnt vmcnt(0)
	v_ashrrev_i32_e32 v87, 31, v11
	buffer_load_dword v11, off, s[96:99], 0 offset:224 ; 4-byte Folded Reload
	;; [unrolled: 3-line block ×27, first 2 shown]
	s_waitcnt vmcnt(0)
	v_ashrrev_i32_e32 v11, 31, v11
	buffer_store_dword v6, off, s[96:99], 0 offset:432 ; 4-byte Folded Spill
	buffer_store_dword v34, off, s[96:99], 0 ; 4-byte Folded Spill
	buffer_store_dword v34, off, s[96:99], 0 offset:436 ; 4-byte Folded Spill
	buffer_store_dword v35, off, s[96:99], 0 offset:4 ; 4-byte Folded Spill
	buffer_store_dword v35, off, s[96:99], 0 offset:440 ; 4-byte Folded Spill
	buffer_store_dword v36, off, s[96:99], 0 offset:8 ; 4-byte Folded Spill
	buffer_store_dword v36, off, s[96:99], 0 offset:444 ; 4-byte Folded Spill
	buffer_store_dword v37, off, s[96:99], 0 offset:12 ; 4-byte Folded Spill
	buffer_store_dword v37, off, s[96:99], 0 offset:448 ; 4-byte Folded Spill
	buffer_store_dword v38, off, s[96:99], 0 offset:16 ; 4-byte Folded Spill
	buffer_store_dword v38, off, s[96:99], 0 offset:452 ; 4-byte Folded Spill
	buffer_store_dword v39, off, s[96:99], 0 offset:20 ; 4-byte Folded Spill
	buffer_store_dword v39, off, s[96:99], 0 offset:456 ; 4-byte Folded Spill
	buffer_store_dword v40, off, s[96:99], 0 offset:24 ; 4-byte Folded Spill
	buffer_store_dword v40, off, s[96:99], 0 offset:460 ; 4-byte Folded Spill
	buffer_store_dword v41, off, s[96:99], 0 offset:28 ; 4-byte Folded Spill
	buffer_store_dword v41, off, s[96:99], 0 offset:464 ; 4-byte Folded Spill
	buffer_store_dword v42, off, s[96:99], 0 offset:32 ; 4-byte Folded Spill
	buffer_store_dword v42, off, s[96:99], 0 offset:468 ; 4-byte Folded Spill
	buffer_store_dword v48, off, s[96:99], 0 offset:36 ; 4-byte Folded Spill
	buffer_store_dword v48, off, s[96:99], 0 offset:472 ; 4-byte Folded Spill
	buffer_store_dword v49, off, s[96:99], 0 offset:40 ; 4-byte Folded Spill
	buffer_store_dword v49, off, s[96:99], 0 offset:476 ; 4-byte Folded Spill
	buffer_store_dword v50, off, s[96:99], 0 offset:44 ; 4-byte Folded Spill
	buffer_store_dword v50, off, s[96:99], 0 offset:480 ; 4-byte Folded Spill
	buffer_store_dword v51, off, s[96:99], 0 offset:48 ; 4-byte Folded Spill
	buffer_store_dword v51, off, s[96:99], 0 offset:484 ; 4-byte Folded Spill
	buffer_store_dword v52, off, s[96:99], 0 offset:52 ; 4-byte Folded Spill
	buffer_store_dword v52, off, s[96:99], 0 offset:488 ; 4-byte Folded Spill
	buffer_store_dword v53, off, s[96:99], 0 offset:56 ; 4-byte Folded Spill
	buffer_store_dword v53, off, s[96:99], 0 offset:492 ; 4-byte Folded Spill
	buffer_store_dword v43, off, s[96:99], 0 offset:60 ; 4-byte Folded Spill
	buffer_store_dword v43, off, s[96:99], 0 offset:496 ; 4-byte Folded Spill
	buffer_store_dword v54, off, s[96:99], 0 offset:64 ; 4-byte Folded Spill
	buffer_store_dword v54, off, s[96:99], 0 offset:500 ; 4-byte Folded Spill
	buffer_store_dword v55, off, s[96:99], 0 offset:68 ; 4-byte Folded Spill
	buffer_store_dword v55, off, s[96:99], 0 offset:504 ; 4-byte Folded Spill
	buffer_store_dword v44, off, s[96:99], 0 offset:76 ; 4-byte Folded Spill
	buffer_store_dword v44, off, s[96:99], 0 offset:508 ; 4-byte Folded Spill
	buffer_store_dword v45, off, s[96:99], 0 offset:84 ; 4-byte Folded Spill
	buffer_store_dword v45, off, s[96:99], 0 offset:512 ; 4-byte Folded Spill
	buffer_store_dword v46, off, s[96:99], 0 offset:92 ; 4-byte Folded Spill
	buffer_store_dword v46, off, s[96:99], 0 offset:516 ; 4-byte Folded Spill
	buffer_store_dword v47, off, s[96:99], 0 offset:100 ; 4-byte Folded Spill
	buffer_store_dword v47, off, s[96:99], 0 offset:520 ; 4-byte Folded Spill
	buffer_store_dword v87, off, s[96:99], 0 offset:108 ; 4-byte Folded Spill
	buffer_store_dword v87, off, s[96:99], 0 offset:524 ; 4-byte Folded Spill
	buffer_store_dword v88, off, s[96:99], 0 offset:116 ; 4-byte Folded Spill
	buffer_store_dword v88, off, s[96:99], 0 offset:528 ; 4-byte Folded Spill
	buffer_store_dword v89, off, s[96:99], 0 offset:124 ; 4-byte Folded Spill
	buffer_store_dword v89, off, s[96:99], 0 offset:532 ; 4-byte Folded Spill
	buffer_store_dword v90, off, s[96:99], 0 offset:132 ; 4-byte Folded Spill
	buffer_store_dword v90, off, s[96:99], 0 offset:536 ; 4-byte Folded Spill
	buffer_store_dword v91, off, s[96:99], 0 offset:136 ; 4-byte Folded Spill
	buffer_store_dword v91, off, s[96:99], 0 offset:540 ; 4-byte Folded Spill
	buffer_store_dword v96, off, s[96:99], 0 offset:140 ; 4-byte Folded Spill
	buffer_store_dword v96, off, s[96:99], 0 offset:544 ; 4-byte Folded Spill
	buffer_store_dword v97, off, s[96:99], 0 offset:144 ; 4-byte Folded Spill
	buffer_store_dword v97, off, s[96:99], 0 offset:548 ; 4-byte Folded Spill
	buffer_store_dword v98, off, s[96:99], 0 offset:148 ; 4-byte Folded Spill
	buffer_store_dword v98, off, s[96:99], 0 offset:552 ; 4-byte Folded Spill
	buffer_store_dword v101, off, s[96:99], 0 offset:152 ; 4-byte Folded Spill
	buffer_store_dword v101, off, s[96:99], 0 offset:556 ; 4-byte Folded Spill
	buffer_store_dword v102, off, s[96:99], 0 offset:156 ; 4-byte Folded Spill
	buffer_store_dword v102, off, s[96:99], 0 offset:560 ; 4-byte Folded Spill
	buffer_store_dword v108, off, s[96:99], 0 offset:160 ; 4-byte Folded Spill
	buffer_store_dword v108, off, s[96:99], 0 offset:564 ; 4-byte Folded Spill
	buffer_store_dword v109, off, s[96:99], 0 offset:164 ; 4-byte Folded Spill
	buffer_store_dword v109, off, s[96:99], 0 offset:568 ; 4-byte Folded Spill
	buffer_store_dword v110, off, s[96:99], 0 offset:168 ; 4-byte Folded Spill
	buffer_store_dword v110, off, s[96:99], 0 offset:572 ; 4-byte Folded Spill
	buffer_store_dword v122, off, s[96:99], 0 offset:172 ; 4-byte Folded Spill
	buffer_store_dword v122, off, s[96:99], 0 offset:576 ; 4-byte Folded Spill
	buffer_store_dword v123, off, s[96:99], 0 offset:176 ; 4-byte Folded Spill
	buffer_store_dword v123, off, s[96:99], 0 offset:580 ; 4-byte Folded Spill
	buffer_store_dword v69, off, s[96:99], 0 offset:180 ; 4-byte Folded Spill
	buffer_store_dword v69, off, s[96:99], 0 offset:584 ; 4-byte Folded Spill
	buffer_store_dword v70, off, s[96:99], 0 offset:184 ; 4-byte Folded Spill
	buffer_store_dword v70, off, s[96:99], 0 offset:588 ; 4-byte Folded Spill
	buffer_store_dword v71, off, s[96:99], 0 offset:188 ; 4-byte Folded Spill
	buffer_store_dword v71, off, s[96:99], 0 offset:592 ; 4-byte Folded Spill
	buffer_store_dword v72, off, s[96:99], 0 offset:192 ; 4-byte Folded Spill
	buffer_store_dword v72, off, s[96:99], 0 offset:596 ; 4-byte Folded Spill
	buffer_store_dword v73, off, s[96:99], 0 offset:196 ; 4-byte Folded Spill
	buffer_store_dword v73, off, s[96:99], 0 offset:600 ; 4-byte Folded Spill
	buffer_store_dword v74, off, s[96:99], 0 offset:200 ; 4-byte Folded Spill
	buffer_store_dword v74, off, s[96:99], 0 offset:604 ; 4-byte Folded Spill
	buffer_store_dword v75, off, s[96:99], 0 offset:204 ; 4-byte Folded Spill
	buffer_store_dword v75, off, s[96:99], 0 offset:608 ; 4-byte Folded Spill
	buffer_store_dword v76, off, s[96:99], 0 offset:208 ; 4-byte Folded Spill
	buffer_store_dword v76, off, s[96:99], 0 offset:612 ; 4-byte Folded Spill
	buffer_store_dword v77, off, s[96:99], 0 offset:212 ; 4-byte Folded Spill
	buffer_store_dword v77, off, s[96:99], 0 offset:616 ; 4-byte Folded Spill
	buffer_store_dword v78, off, s[96:99], 0 offset:216 ; 4-byte Folded Spill
	buffer_store_dword v78, off, s[96:99], 0 offset:620 ; 4-byte Folded Spill
	buffer_store_dword v79, off, s[96:99], 0 offset:220 ; 4-byte Folded Spill
	buffer_store_dword v79, off, s[96:99], 0 offset:624 ; 4-byte Folded Spill
	buffer_store_dword v80, off, s[96:99], 0 offset:224 ; 4-byte Folded Spill
	buffer_store_dword v80, off, s[96:99], 0 offset:628 ; 4-byte Folded Spill
	buffer_store_dword v11, off, s[96:99], 0 offset:228 ; 4-byte Folded Spill
	buffer_store_dword v11, off, s[96:99], 0 offset:632 ; 4-byte Folded Spill
	buffer_store_dword v92, off, s[96:99], 0 offset:232 ; 4-byte Folded Spill
	buffer_store_dword v92, off, s[96:99], 0 offset:636 ; 4-byte Folded Spill
	buffer_store_dword v94, off, s[96:99], 0 offset:236 ; 4-byte Folded Spill
	buffer_store_dword v94, off, s[96:99], 0 offset:640 ; 4-byte Folded Spill
	buffer_store_dword v95, off, s[96:99], 0 offset:240 ; 4-byte Folded Spill
	buffer_store_dword v95, off, s[96:99], 0 offset:644 ; 4-byte Folded Spill
	buffer_store_dword v99, off, s[96:99], 0 offset:244 ; 4-byte Folded Spill
	buffer_store_dword v99, off, s[96:99], 0 offset:648 ; 4-byte Folded Spill
	buffer_store_dword v100, off, s[96:99], 0 offset:248 ; 4-byte Folded Spill
	buffer_store_dword v100, off, s[96:99], 0 offset:652 ; 4-byte Folded Spill
	buffer_store_dword v103, off, s[96:99], 0 offset:252 ; 4-byte Folded Spill
	buffer_store_dword v103, off, s[96:99], 0 offset:656 ; 4-byte Folded Spill
	buffer_store_dword v104, off, s[96:99], 0 offset:256 ; 4-byte Folded Spill
	buffer_store_dword v104, off, s[96:99], 0 offset:660 ; 4-byte Folded Spill
	buffer_store_dword v105, off, s[96:99], 0 offset:260 ; 4-byte Folded Spill
	buffer_store_dword v105, off, s[96:99], 0 offset:664 ; 4-byte Folded Spill
	buffer_store_dword v106, off, s[96:99], 0 offset:264 ; 4-byte Folded Spill
	buffer_store_dword v106, off, s[96:99], 0 offset:668 ; 4-byte Folded Spill
	buffer_store_dword v107, off, s[96:99], 0 offset:268 ; 4-byte Folded Spill
	buffer_store_dword v107, off, s[96:99], 0 offset:672 ; 4-byte Folded Spill
	buffer_store_dword v111, off, s[96:99], 0 offset:272 ; 4-byte Folded Spill
	buffer_store_dword v111, off, s[96:99], 0 offset:676 ; 4-byte Folded Spill
	buffer_store_dword v112, off, s[96:99], 0 offset:276 ; 4-byte Folded Spill
	buffer_store_dword v112, off, s[96:99], 0 offset:680 ; 4-byte Folded Spill
	buffer_store_dword v113, off, s[96:99], 0 offset:280 ; 4-byte Folded Spill
	buffer_store_dword v113, off, s[96:99], 0 offset:684 ; 4-byte Folded Spill
	buffer_store_dword v114, off, s[96:99], 0 offset:284 ; 4-byte Folded Spill
	buffer_store_dword v114, off, s[96:99], 0 offset:688 ; 4-byte Folded Spill
	buffer_store_dword v115, off, s[96:99], 0 offset:288 ; 4-byte Folded Spill
	buffer_store_dword v115, off, s[96:99], 0 offset:692 ; 4-byte Folded Spill
	buffer_store_dword v116, off, s[96:99], 0 offset:292 ; 4-byte Folded Spill
	buffer_store_dword v116, off, s[96:99], 0 offset:696 ; 4-byte Folded Spill
	buffer_store_dword v117, off, s[96:99], 0 offset:296 ; 4-byte Folded Spill
	buffer_store_dword v117, off, s[96:99], 0 offset:700 ; 4-byte Folded Spill
	buffer_store_dword v118, off, s[96:99], 0 offset:300 ; 4-byte Folded Spill
	buffer_store_dword v118, off, s[96:99], 0 offset:704 ; 4-byte Folded Spill
	buffer_store_dword v119, off, s[96:99], 0 offset:304 ; 4-byte Folded Spill
	v_mov_b32_e32 v11, v119
	v_mov_b32_e32 v54, v120
	;; [unrolled: 1-line block ×6, first 2 shown]
	buffer_load_dword v101, off, s[96:99], 0 offset:796 ; 4-byte Folded Reload
	buffer_load_dword v102, off, s[96:99], 0 offset:800 ; 4-byte Folded Reload
	;; [unrolled: 1-line block ×16, first 2 shown]
	v_mov_b32_e32 v63, v82
	v_mov_b32_e32 v107, v82
	;; [unrolled: 1-line block ×11, first 2 shown]
	buffer_load_dword v114, off, s[96:99], 0 offset:840 ; 4-byte Folded Reload
	buffer_load_dword v115, off, s[96:99], 0 offset:844 ; 4-byte Folded Reload
	;; [unrolled: 1-line block ×11, first 2 shown]
	v_mov_b32_e32 v87, v5
	v_mov_b32_e32 v3, v5
	buffer_load_dword v5, off, s[96:99], 0 offset:880 ; 4-byte Folded Reload
	v_mov_b32_e32 v48, v58
	v_mov_b32_e32 v71, v60
	;; [unrolled: 1-line block ×30, first 2 shown]
	s_waitcnt vmcnt(27)
	v_mov_b32_e32 v62, v101
	s_waitcnt vmcnt(26)
	v_mov_b32_e32 v17, v102
	;; [unrolled: 2-line block ×28, first 2 shown]
	s_branch .LBB11_2
.LBB11_1:                               ;   in Loop: Header=BB11_2 Depth=1
	s_or_b64 exec, exec, s[6:7]
	s_add_i32 s33, s33, -1
	s_cmp_lg_u32 s33, 0
	s_waitcnt lgkmcnt(0)
	s_barrier
	s_cbranch_scc0 .LBB11_36
.LBB11_2:                               ; =>This Inner Loop Header: Depth=1
	s_and_saveexec_b64 s[6:7], s[68:69]
	s_cbranch_execz .LBB11_4
; %bb.3:                                ;   in Loop: Header=BB11_2 Depth=1
	buffer_load_dword v44, off, s[96:99], 0 offset:708 ; 4-byte Folded Reload
	s_waitcnt vmcnt(0)
	ds_write_b32 v44, v93
.LBB11_4:                               ;   in Loop: Header=BB11_2 Depth=1
	s_or_b64 exec, exec, s[6:7]
	v_cndmask_b32_e64 v44, 0, 1, s[70:71]
	s_waitcnt lgkmcnt(0)
	s_barrier
	v_cmp_ne_u32_e32 vcc, 0, v44
	buffer_load_dword v44, off, s[96:99], 0 offset:372 ; 4-byte Folded Reload
	buffer_load_dword v45, off, s[96:99], 0 offset:368 ; 4-byte Folded Reload
	buffer_load_dword v47, off, s[96:99], 0 ; 4-byte Folded Reload
	v_cndmask_b32_e64 v46, 0, 1, s[10:11]
	s_waitcnt vmcnt(2)
	v_xor_b32_e32 v44, vcc_hi, v44
	s_waitcnt vmcnt(1)
	v_xor_b32_e32 v45, vcc_lo, v45
	v_cmp_ne_u32_e32 vcc, 0, v46
	buffer_load_dword v46, off, s[96:99], 0 offset:436 ; 4-byte Folded Reload
	v_and_b32_e32 v45, exec_lo, v45
	s_waitcnt vmcnt(1)
	v_xor_b32_e32 v47, vcc_lo, v47
	v_and_b32_e32 v44, exec_hi, v44
	v_and_b32_e32 v45, v45, v47
	buffer_load_dword v47, off, s[96:99], 0 offset:4 ; 4-byte Folded Reload
	s_waitcnt vmcnt(1)
	v_xor_b32_e32 v46, vcc_hi, v46
	v_and_b32_e32 v44, v44, v46
	v_cndmask_b32_e64 v46, 0, 1, s[12:13]
	v_cmp_ne_u32_e32 vcc, 0, v46
	buffer_load_dword v46, off, s[96:99], 0 offset:440 ; 4-byte Folded Reload
	s_waitcnt vmcnt(1)
	v_xor_b32_e32 v47, vcc_lo, v47
	v_and_b32_e32 v45, v45, v47
	buffer_load_dword v47, off, s[96:99], 0 offset:8 ; 4-byte Folded Reload
	s_waitcnt vmcnt(1)
	v_xor_b32_e32 v46, vcc_hi, v46
	v_and_b32_e32 v44, v44, v46
	v_cndmask_b32_e64 v46, 0, 1, s[14:15]
	v_cmp_ne_u32_e32 vcc, 0, v46
	buffer_load_dword v46, off, s[96:99], 0 offset:444 ; 4-byte Folded Reload
	s_waitcnt vmcnt(1)
	v_xor_b32_e32 v47, vcc_lo, v47
	;; [unrolled: 10-line block ×7, first 2 shown]
	v_and_b32_e32 v45, v45, v47
	s_waitcnt vmcnt(0)
	v_xor_b32_e32 v46, vcc_hi, v46
	v_and_b32_e32 v44, v44, v46
	v_mbcnt_lo_u32_b32 v46, v45, 0
	v_mbcnt_hi_u32_b32 v46, v44, v46
	v_cmp_eq_u32_e32 vcc, 0, v46
	s_and_saveexec_b64 s[6:7], vcc
	s_cbranch_execz .LBB11_6
; %bb.5:                                ;   in Loop: Header=BB11_2 Depth=1
	v_bcnt_u32_b32 v45, v45, 0
	v_bcnt_u32_b32 v44, v44, v45
	buffer_load_dword v45, off, s[96:99], 0 offset:712 ; 4-byte Folded Reload
	s_waitcnt vmcnt(0)
	ds_add_u32 v45, v44
.LBB11_6:                               ;   in Loop: Header=BB11_2 Depth=1
	s_or_b64 exec, exec, s[6:7]
	v_cndmask_b32_e64 v44, 0, 1, s[72:73]
	v_cmp_ne_u32_e32 vcc, 0, v44
	buffer_load_dword v44, off, s[96:99], 0 offset:376 ; 4-byte Folded Reload
	buffer_load_dword v45, off, s[96:99], 0 offset:308 ; 4-byte Folded Reload
	;; [unrolled: 1-line block ×3, first 2 shown]
	v_cndmask_b32_e64 v46, 0, 1, s[26:27]
	v_readlane_b32 s6, v124, 22
	v_readlane_b32 s7, v124, 23
	s_waitcnt vmcnt(2)
	v_xor_b32_e32 v44, vcc_hi, v44
	s_waitcnt vmcnt(1)
	v_xor_b32_e32 v45, vcc_lo, v45
	v_cmp_ne_u32_e32 vcc, 0, v46
	buffer_load_dword v46, off, s[96:99], 0 offset:468 ; 4-byte Folded Reload
	v_and_b32_e32 v45, exec_lo, v45
	s_waitcnt vmcnt(1)
	v_xor_b32_e32 v47, vcc_lo, v47
	v_and_b32_e32 v44, exec_hi, v44
	v_and_b32_e32 v45, v45, v47
	buffer_load_dword v47, off, s[96:99], 0 offset:36 ; 4-byte Folded Reload
	s_waitcnt vmcnt(1)
	v_xor_b32_e32 v46, vcc_hi, v46
	v_and_b32_e32 v44, v44, v46
	v_cndmask_b32_e64 v46, 0, 1, s[6:7]
	v_cmp_ne_u32_e32 vcc, 0, v46
	buffer_load_dword v46, off, s[96:99], 0 offset:472 ; 4-byte Folded Reload
	s_waitcnt vmcnt(1)
	v_xor_b32_e32 v47, vcc_lo, v47
	v_readlane_b32 s6, v124, 24
	v_and_b32_e32 v45, v45, v47
	v_readlane_b32 s7, v124, 25
	buffer_load_dword v47, off, s[96:99], 0 offset:40 ; 4-byte Folded Reload
	s_waitcnt vmcnt(1)
	v_xor_b32_e32 v46, vcc_hi, v46
	v_and_b32_e32 v44, v44, v46
	v_cndmask_b32_e64 v46, 0, 1, s[6:7]
	v_cmp_ne_u32_e32 vcc, 0, v46
	buffer_load_dword v46, off, s[96:99], 0 offset:476 ; 4-byte Folded Reload
	s_waitcnt vmcnt(1)
	v_xor_b32_e32 v47, vcc_lo, v47
	v_readlane_b32 s6, v124, 26
	v_and_b32_e32 v45, v45, v47
	v_readlane_b32 s7, v124, 27
	;; [unrolled: 12-line block ×6, first 2 shown]
	buffer_load_dword v47, off, s[96:99], 0 offset:60 ; 4-byte Folded Reload
	s_waitcnt vmcnt(1)
	v_xor_b32_e32 v46, vcc_hi, v46
	v_and_b32_e32 v44, v44, v46
	v_cndmask_b32_e64 v46, 0, 1, s[6:7]
	v_cmp_ne_u32_e32 vcc, 0, v46
	buffer_load_dword v46, off, s[96:99], 0 offset:496 ; 4-byte Folded Reload
	s_waitcnt vmcnt(1)
	v_xor_b32_e32 v47, vcc_lo, v47
	v_and_b32_e32 v45, v45, v47
	s_waitcnt vmcnt(0)
	v_xor_b32_e32 v46, vcc_hi, v46
	v_and_b32_e32 v44, v44, v46
	v_mbcnt_lo_u32_b32 v46, v45, 0
	v_mbcnt_hi_u32_b32 v46, v44, v46
	v_cmp_eq_u32_e32 vcc, 0, v46
	s_and_saveexec_b64 s[6:7], vcc
	s_cbranch_execz .LBB11_8
; %bb.7:                                ;   in Loop: Header=BB11_2 Depth=1
	v_bcnt_u32_b32 v45, v45, 0
	v_bcnt_u32_b32 v44, v44, v45
	buffer_load_dword v45, off, s[96:99], 0 offset:716 ; 4-byte Folded Reload
	s_waitcnt vmcnt(0)
	ds_add_u32 v45, v44
.LBB11_8:                               ;   in Loop: Header=BB11_2 Depth=1
	s_or_b64 exec, exec, s[6:7]
	v_cndmask_b32_e64 v44, 0, 1, s[74:75]
	v_cmp_ne_u32_e32 vcc, 0, v44
	buffer_load_dword v44, off, s[96:99], 0 offset:380 ; 4-byte Folded Reload
	buffer_load_dword v45, off, s[96:99], 0 offset:312 ; 4-byte Folded Reload
	;; [unrolled: 1-line block ×3, first 2 shown]
	v_readlane_b32 s6, v124, 36
	v_readlane_b32 s7, v124, 37
	v_cndmask_b32_e64 v46, 0, 1, s[6:7]
	v_readlane_b32 s6, v124, 38
	v_readlane_b32 s7, v124, 39
	s_waitcnt vmcnt(2)
	v_xor_b32_e32 v44, vcc_hi, v44
	s_waitcnt vmcnt(1)
	v_xor_b32_e32 v45, vcc_lo, v45
	v_cmp_ne_u32_e32 vcc, 0, v46
	buffer_load_dword v46, off, s[96:99], 0 offset:500 ; 4-byte Folded Reload
	v_and_b32_e32 v45, exec_lo, v45
	s_waitcnt vmcnt(1)
	v_xor_b32_e32 v47, vcc_lo, v47
	v_and_b32_e32 v44, exec_hi, v44
	v_and_b32_e32 v45, v45, v47
	buffer_load_dword v47, off, s[96:99], 0 offset:68 ; 4-byte Folded Reload
	s_waitcnt vmcnt(1)
	v_xor_b32_e32 v46, vcc_hi, v46
	v_and_b32_e32 v44, v44, v46
	v_cndmask_b32_e64 v46, 0, 1, s[6:7]
	v_cmp_ne_u32_e32 vcc, 0, v46
	buffer_load_dword v46, off, s[96:99], 0 offset:504 ; 4-byte Folded Reload
	s_waitcnt vmcnt(1)
	v_xor_b32_e32 v47, vcc_lo, v47
	v_readlane_b32 s6, v124, 40
	v_and_b32_e32 v45, v45, v47
	v_readlane_b32 s7, v124, 41
	buffer_load_dword v47, off, s[96:99], 0 offset:76 ; 4-byte Folded Reload
	s_waitcnt vmcnt(1)
	v_xor_b32_e32 v46, vcc_hi, v46
	v_and_b32_e32 v44, v44, v46
	v_cndmask_b32_e64 v46, 0, 1, s[6:7]
	v_cmp_ne_u32_e32 vcc, 0, v46
	buffer_load_dword v46, off, s[96:99], 0 offset:508 ; 4-byte Folded Reload
	s_waitcnt vmcnt(1)
	v_xor_b32_e32 v47, vcc_lo, v47
	v_readlane_b32 s6, v124, 42
	v_and_b32_e32 v45, v45, v47
	v_readlane_b32 s7, v124, 43
	;; [unrolled: 12-line block ×6, first 2 shown]
	buffer_load_dword v47, off, s[96:99], 0 offset:116 ; 4-byte Folded Reload
	s_waitcnt vmcnt(1)
	v_xor_b32_e32 v46, vcc_hi, v46
	v_and_b32_e32 v44, v44, v46
	v_cndmask_b32_e64 v46, 0, 1, s[6:7]
	v_cmp_ne_u32_e32 vcc, 0, v46
	buffer_load_dword v46, off, s[96:99], 0 offset:528 ; 4-byte Folded Reload
	s_waitcnt vmcnt(1)
	v_xor_b32_e32 v47, vcc_lo, v47
	v_and_b32_e32 v45, v45, v47
	s_waitcnt vmcnt(0)
	v_xor_b32_e32 v46, vcc_hi, v46
	v_and_b32_e32 v44, v44, v46
	v_mbcnt_lo_u32_b32 v46, v45, 0
	v_mbcnt_hi_u32_b32 v46, v44, v46
	v_cmp_eq_u32_e32 vcc, 0, v46
	s_and_saveexec_b64 s[6:7], vcc
	s_cbranch_execz .LBB11_10
; %bb.9:                                ;   in Loop: Header=BB11_2 Depth=1
	v_bcnt_u32_b32 v45, v45, 0
	v_bcnt_u32_b32 v44, v44, v45
	buffer_load_dword v45, off, s[96:99], 0 offset:720 ; 4-byte Folded Reload
	s_waitcnt vmcnt(0)
	ds_add_u32 v45, v44
.LBB11_10:                              ;   in Loop: Header=BB11_2 Depth=1
	s_or_b64 exec, exec, s[6:7]
	v_cndmask_b32_e64 v44, 0, 1, s[76:77]
	v_cmp_ne_u32_e32 vcc, 0, v44
	buffer_load_dword v44, off, s[96:99], 0 offset:384 ; 4-byte Folded Reload
	buffer_load_dword v45, off, s[96:99], 0 offset:316 ; 4-byte Folded Reload
	;; [unrolled: 1-line block ×3, first 2 shown]
	v_readlane_b32 s6, v124, 52
	v_readlane_b32 s7, v124, 53
	v_cndmask_b32_e64 v46, 0, 1, s[6:7]
	v_readlane_b32 s6, v124, 54
	v_readlane_b32 s7, v124, 55
	s_waitcnt vmcnt(2)
	v_xor_b32_e32 v44, vcc_hi, v44
	s_waitcnt vmcnt(1)
	v_xor_b32_e32 v45, vcc_lo, v45
	v_cmp_ne_u32_e32 vcc, 0, v46
	buffer_load_dword v46, off, s[96:99], 0 offset:532 ; 4-byte Folded Reload
	v_and_b32_e32 v45, exec_lo, v45
	s_waitcnt vmcnt(1)
	v_xor_b32_e32 v47, vcc_lo, v47
	v_and_b32_e32 v44, exec_hi, v44
	v_and_b32_e32 v45, v45, v47
	buffer_load_dword v47, off, s[96:99], 0 offset:132 ; 4-byte Folded Reload
	s_waitcnt vmcnt(1)
	v_xor_b32_e32 v46, vcc_hi, v46
	v_and_b32_e32 v44, v44, v46
	v_cndmask_b32_e64 v46, 0, 1, s[6:7]
	v_cmp_ne_u32_e32 vcc, 0, v46
	buffer_load_dword v46, off, s[96:99], 0 offset:536 ; 4-byte Folded Reload
	s_waitcnt vmcnt(1)
	v_xor_b32_e32 v47, vcc_lo, v47
	v_readlane_b32 s6, v124, 56
	v_and_b32_e32 v45, v45, v47
	v_readlane_b32 s7, v124, 57
	buffer_load_dword v47, off, s[96:99], 0 offset:136 ; 4-byte Folded Reload
	s_waitcnt vmcnt(1)
	v_xor_b32_e32 v46, vcc_hi, v46
	v_and_b32_e32 v44, v44, v46
	v_cndmask_b32_e64 v46, 0, 1, s[6:7]
	v_cmp_ne_u32_e32 vcc, 0, v46
	buffer_load_dword v46, off, s[96:99], 0 offset:540 ; 4-byte Folded Reload
	s_waitcnt vmcnt(1)
	v_xor_b32_e32 v47, vcc_lo, v47
	v_readlane_b32 s6, v124, 58
	v_and_b32_e32 v45, v45, v47
	v_readlane_b32 s7, v124, 59
	;; [unrolled: 12-line block ×6, first 2 shown]
	buffer_load_dword v47, off, s[96:99], 0 offset:156 ; 4-byte Folded Reload
	s_waitcnt vmcnt(1)
	v_xor_b32_e32 v46, vcc_hi, v46
	v_and_b32_e32 v44, v44, v46
	v_cndmask_b32_e64 v46, 0, 1, s[6:7]
	v_cmp_ne_u32_e32 vcc, 0, v46
	buffer_load_dword v46, off, s[96:99], 0 offset:560 ; 4-byte Folded Reload
	s_waitcnt vmcnt(1)
	v_xor_b32_e32 v47, vcc_lo, v47
	v_and_b32_e32 v45, v45, v47
	s_waitcnt vmcnt(0)
	v_xor_b32_e32 v46, vcc_hi, v46
	v_and_b32_e32 v44, v44, v46
	v_mbcnt_lo_u32_b32 v46, v45, 0
	v_mbcnt_hi_u32_b32 v46, v44, v46
	v_cmp_eq_u32_e32 vcc, 0, v46
	s_and_saveexec_b64 s[6:7], vcc
	s_cbranch_execz .LBB11_12
; %bb.11:                               ;   in Loop: Header=BB11_2 Depth=1
	v_bcnt_u32_b32 v45, v45, 0
	v_bcnt_u32_b32 v44, v44, v45
	buffer_load_dword v45, off, s[96:99], 0 offset:724 ; 4-byte Folded Reload
	s_waitcnt vmcnt(0)
	ds_add_u32 v45, v44
.LBB11_12:                              ;   in Loop: Header=BB11_2 Depth=1
	s_or_b64 exec, exec, s[6:7]
	v_cndmask_b32_e64 v44, 0, 1, s[78:79]
	v_cmp_ne_u32_e32 vcc, 0, v44
	buffer_load_dword v44, off, s[96:99], 0 offset:388 ; 4-byte Folded Reload
	buffer_load_dword v45, off, s[96:99], 0 offset:320 ; 4-byte Folded Reload
	;; [unrolled: 1-line block ×3, first 2 shown]
	v_readlane_b32 s6, v125, 4
	v_readlane_b32 s7, v125, 5
	v_cndmask_b32_e64 v46, 0, 1, s[6:7]
	v_readlane_b32 s6, v125, 6
	v_readlane_b32 s7, v125, 7
	s_waitcnt vmcnt(2)
	v_xor_b32_e32 v44, vcc_hi, v44
	s_waitcnt vmcnt(1)
	v_xor_b32_e32 v45, vcc_lo, v45
	v_cmp_ne_u32_e32 vcc, 0, v46
	buffer_load_dword v46, off, s[96:99], 0 offset:564 ; 4-byte Folded Reload
	v_and_b32_e32 v45, exec_lo, v45
	s_waitcnt vmcnt(1)
	v_xor_b32_e32 v47, vcc_lo, v47
	v_and_b32_e32 v44, exec_hi, v44
	v_and_b32_e32 v45, v45, v47
	buffer_load_dword v47, off, s[96:99], 0 offset:164 ; 4-byte Folded Reload
	s_waitcnt vmcnt(1)
	v_xor_b32_e32 v46, vcc_hi, v46
	v_and_b32_e32 v44, v44, v46
	v_cndmask_b32_e64 v46, 0, 1, s[6:7]
	v_cmp_ne_u32_e32 vcc, 0, v46
	buffer_load_dword v46, off, s[96:99], 0 offset:568 ; 4-byte Folded Reload
	s_waitcnt vmcnt(1)
	v_xor_b32_e32 v47, vcc_lo, v47
	v_readlane_b32 s6, v125, 8
	v_and_b32_e32 v45, v45, v47
	v_readlane_b32 s7, v125, 9
	buffer_load_dword v47, off, s[96:99], 0 offset:168 ; 4-byte Folded Reload
	s_waitcnt vmcnt(1)
	v_xor_b32_e32 v46, vcc_hi, v46
	v_and_b32_e32 v44, v44, v46
	v_cndmask_b32_e64 v46, 0, 1, s[6:7]
	v_cmp_ne_u32_e32 vcc, 0, v46
	buffer_load_dword v46, off, s[96:99], 0 offset:572 ; 4-byte Folded Reload
	s_waitcnt vmcnt(1)
	v_xor_b32_e32 v47, vcc_lo, v47
	v_readlane_b32 s6, v125, 10
	v_and_b32_e32 v45, v45, v47
	v_readlane_b32 s7, v125, 11
	;; [unrolled: 12-line block ×6, first 2 shown]
	buffer_load_dword v47, off, s[96:99], 0 offset:188 ; 4-byte Folded Reload
	s_waitcnt vmcnt(1)
	v_xor_b32_e32 v46, vcc_hi, v46
	v_and_b32_e32 v44, v44, v46
	v_cndmask_b32_e64 v46, 0, 1, s[6:7]
	v_cmp_ne_u32_e32 vcc, 0, v46
	buffer_load_dword v46, off, s[96:99], 0 offset:592 ; 4-byte Folded Reload
	s_waitcnt vmcnt(1)
	v_xor_b32_e32 v47, vcc_lo, v47
	v_and_b32_e32 v45, v45, v47
	s_waitcnt vmcnt(0)
	v_xor_b32_e32 v46, vcc_hi, v46
	v_and_b32_e32 v44, v44, v46
	v_mbcnt_lo_u32_b32 v46, v45, 0
	v_mbcnt_hi_u32_b32 v46, v44, v46
	v_cmp_eq_u32_e32 vcc, 0, v46
	s_and_saveexec_b64 s[6:7], vcc
	s_cbranch_execz .LBB11_14
; %bb.13:                               ;   in Loop: Header=BB11_2 Depth=1
	v_bcnt_u32_b32 v45, v45, 0
	v_bcnt_u32_b32 v44, v44, v45
	buffer_load_dword v45, off, s[96:99], 0 offset:728 ; 4-byte Folded Reload
	s_waitcnt vmcnt(0)
	ds_add_u32 v45, v44
.LBB11_14:                              ;   in Loop: Header=BB11_2 Depth=1
	s_or_b64 exec, exec, s[6:7]
	v_cndmask_b32_e64 v44, 0, 1, s[80:81]
	v_cmp_ne_u32_e32 vcc, 0, v44
	buffer_load_dword v44, off, s[96:99], 0 offset:392 ; 4-byte Folded Reload
	buffer_load_dword v45, off, s[96:99], 0 offset:324 ; 4-byte Folded Reload
	buffer_load_dword v47, off, s[96:99], 0 offset:192 ; 4-byte Folded Reload
	v_readlane_b32 s6, v125, 20
	v_readlane_b32 s7, v125, 21
	v_cndmask_b32_e64 v46, 0, 1, s[6:7]
	v_readlane_b32 s6, v125, 22
	v_readlane_b32 s7, v125, 23
	s_waitcnt vmcnt(2)
	v_xor_b32_e32 v44, vcc_hi, v44
	s_waitcnt vmcnt(1)
	v_xor_b32_e32 v45, vcc_lo, v45
	v_cmp_ne_u32_e32 vcc, 0, v46
	buffer_load_dword v46, off, s[96:99], 0 offset:596 ; 4-byte Folded Reload
	v_and_b32_e32 v45, exec_lo, v45
	s_waitcnt vmcnt(1)
	v_xor_b32_e32 v47, vcc_lo, v47
	v_and_b32_e32 v44, exec_hi, v44
	v_and_b32_e32 v45, v45, v47
	buffer_load_dword v47, off, s[96:99], 0 offset:196 ; 4-byte Folded Reload
	s_waitcnt vmcnt(1)
	v_xor_b32_e32 v46, vcc_hi, v46
	v_and_b32_e32 v44, v44, v46
	v_cndmask_b32_e64 v46, 0, 1, s[6:7]
	v_cmp_ne_u32_e32 vcc, 0, v46
	buffer_load_dword v46, off, s[96:99], 0 offset:600 ; 4-byte Folded Reload
	s_waitcnt vmcnt(1)
	v_xor_b32_e32 v47, vcc_lo, v47
	v_readlane_b32 s6, v125, 24
	v_and_b32_e32 v45, v45, v47
	v_readlane_b32 s7, v125, 25
	buffer_load_dword v47, off, s[96:99], 0 offset:200 ; 4-byte Folded Reload
	s_waitcnt vmcnt(1)
	v_xor_b32_e32 v46, vcc_hi, v46
	v_and_b32_e32 v44, v44, v46
	v_cndmask_b32_e64 v46, 0, 1, s[6:7]
	v_cmp_ne_u32_e32 vcc, 0, v46
	buffer_load_dword v46, off, s[96:99], 0 offset:604 ; 4-byte Folded Reload
	s_waitcnt vmcnt(1)
	v_xor_b32_e32 v47, vcc_lo, v47
	v_readlane_b32 s6, v125, 26
	v_and_b32_e32 v45, v45, v47
	v_readlane_b32 s7, v125, 27
	;; [unrolled: 12-line block ×6, first 2 shown]
	buffer_load_dword v47, off, s[96:99], 0 offset:220 ; 4-byte Folded Reload
	s_waitcnt vmcnt(1)
	v_xor_b32_e32 v46, vcc_hi, v46
	v_and_b32_e32 v44, v44, v46
	v_cndmask_b32_e64 v46, 0, 1, s[6:7]
	v_cmp_ne_u32_e32 vcc, 0, v46
	buffer_load_dword v46, off, s[96:99], 0 offset:624 ; 4-byte Folded Reload
	s_waitcnt vmcnt(1)
	v_xor_b32_e32 v47, vcc_lo, v47
	v_and_b32_e32 v45, v45, v47
	s_waitcnt vmcnt(0)
	v_xor_b32_e32 v46, vcc_hi, v46
	v_and_b32_e32 v44, v44, v46
	v_mbcnt_lo_u32_b32 v46, v45, 0
	v_mbcnt_hi_u32_b32 v46, v44, v46
	v_cmp_eq_u32_e32 vcc, 0, v46
	s_and_saveexec_b64 s[6:7], vcc
	s_cbranch_execz .LBB11_16
; %bb.15:                               ;   in Loop: Header=BB11_2 Depth=1
	v_bcnt_u32_b32 v45, v45, 0
	v_bcnt_u32_b32 v44, v44, v45
	buffer_load_dword v45, off, s[96:99], 0 offset:732 ; 4-byte Folded Reload
	s_waitcnt vmcnt(0)
	ds_add_u32 v45, v44
.LBB11_16:                              ;   in Loop: Header=BB11_2 Depth=1
	s_or_b64 exec, exec, s[6:7]
	v_cndmask_b32_e64 v44, 0, 1, s[82:83]
	v_cmp_ne_u32_e32 vcc, 0, v44
	buffer_load_dword v44, off, s[96:99], 0 offset:396 ; 4-byte Folded Reload
	buffer_load_dword v45, off, s[96:99], 0 offset:328 ; 4-byte Folded Reload
	buffer_load_dword v47, off, s[96:99], 0 offset:224 ; 4-byte Folded Reload
	v_readlane_b32 s6, v125, 36
	v_readlane_b32 s7, v125, 37
	v_cndmask_b32_e64 v46, 0, 1, s[6:7]
	v_readlane_b32 s6, v125, 38
	v_readlane_b32 s7, v125, 39
	s_waitcnt vmcnt(2)
	v_xor_b32_e32 v44, vcc_hi, v44
	s_waitcnt vmcnt(1)
	v_xor_b32_e32 v45, vcc_lo, v45
	v_cmp_ne_u32_e32 vcc, 0, v46
	buffer_load_dword v46, off, s[96:99], 0 offset:628 ; 4-byte Folded Reload
	v_and_b32_e32 v45, exec_lo, v45
	s_waitcnt vmcnt(1)
	v_xor_b32_e32 v47, vcc_lo, v47
	v_and_b32_e32 v44, exec_hi, v44
	v_and_b32_e32 v45, v45, v47
	buffer_load_dword v47, off, s[96:99], 0 offset:228 ; 4-byte Folded Reload
	s_waitcnt vmcnt(1)
	v_xor_b32_e32 v46, vcc_hi, v46
	v_and_b32_e32 v44, v44, v46
	v_cndmask_b32_e64 v46, 0, 1, s[6:7]
	v_cmp_ne_u32_e32 vcc, 0, v46
	buffer_load_dword v46, off, s[96:99], 0 offset:632 ; 4-byte Folded Reload
	s_waitcnt vmcnt(1)
	v_xor_b32_e32 v47, vcc_lo, v47
	v_readlane_b32 s6, v125, 40
	v_and_b32_e32 v45, v45, v47
	v_readlane_b32 s7, v125, 41
	buffer_load_dword v47, off, s[96:99], 0 offset:232 ; 4-byte Folded Reload
	s_waitcnt vmcnt(1)
	v_xor_b32_e32 v46, vcc_hi, v46
	v_and_b32_e32 v44, v44, v46
	v_cndmask_b32_e64 v46, 0, 1, s[6:7]
	v_cmp_ne_u32_e32 vcc, 0, v46
	buffer_load_dword v46, off, s[96:99], 0 offset:636 ; 4-byte Folded Reload
	s_waitcnt vmcnt(1)
	v_xor_b32_e32 v47, vcc_lo, v47
	v_readlane_b32 s6, v125, 42
	v_and_b32_e32 v45, v45, v47
	v_readlane_b32 s7, v125, 43
	buffer_load_dword v47, off, s[96:99], 0 offset:236 ; 4-byte Folded Reload
	s_waitcnt vmcnt(1)
	v_xor_b32_e32 v46, vcc_hi, v46
	v_and_b32_e32 v44, v44, v46
	v_cndmask_b32_e64 v46, 0, 1, s[6:7]
	v_cmp_ne_u32_e32 vcc, 0, v46
	buffer_load_dword v46, off, s[96:99], 0 offset:640 ; 4-byte Folded Reload
	s_waitcnt vmcnt(1)
	v_xor_b32_e32 v47, vcc_lo, v47
	v_readlane_b32 s6, v125, 44
	v_and_b32_e32 v45, v45, v47
	v_readlane_b32 s7, v125, 45
	buffer_load_dword v47, off, s[96:99], 0 offset:240 ; 4-byte Folded Reload
	s_waitcnt vmcnt(1)
	v_xor_b32_e32 v46, vcc_hi, v46
	v_and_b32_e32 v44, v44, v46
	v_cndmask_b32_e64 v46, 0, 1, s[6:7]
	v_cmp_ne_u32_e32 vcc, 0, v46
	buffer_load_dword v46, off, s[96:99], 0 offset:644 ; 4-byte Folded Reload
	s_waitcnt vmcnt(1)
	v_xor_b32_e32 v47, vcc_lo, v47
	v_readlane_b32 s6, v125, 46
	v_and_b32_e32 v45, v45, v47
	v_readlane_b32 s7, v125, 47
	buffer_load_dword v47, off, s[96:99], 0 offset:244 ; 4-byte Folded Reload
	s_waitcnt vmcnt(1)
	v_xor_b32_e32 v46, vcc_hi, v46
	v_and_b32_e32 v44, v44, v46
	v_cndmask_b32_e64 v46, 0, 1, s[6:7]
	v_cmp_ne_u32_e32 vcc, 0, v46
	buffer_load_dword v46, off, s[96:99], 0 offset:648 ; 4-byte Folded Reload
	s_waitcnt vmcnt(1)
	v_xor_b32_e32 v47, vcc_lo, v47
	v_readlane_b32 s6, v125, 48
	v_and_b32_e32 v45, v45, v47
	v_readlane_b32 s7, v125, 49
	buffer_load_dword v47, off, s[96:99], 0 offset:248 ; 4-byte Folded Reload
	s_waitcnt vmcnt(1)
	v_xor_b32_e32 v46, vcc_hi, v46
	v_and_b32_e32 v44, v44, v46
	v_cndmask_b32_e64 v46, 0, 1, s[6:7]
	v_cmp_ne_u32_e32 vcc, 0, v46
	buffer_load_dword v46, off, s[96:99], 0 offset:652 ; 4-byte Folded Reload
	s_waitcnt vmcnt(1)
	v_xor_b32_e32 v47, vcc_lo, v47
	v_readlane_b32 s6, v125, 50
	v_and_b32_e32 v45, v45, v47
	v_readlane_b32 s7, v125, 51
	buffer_load_dword v47, off, s[96:99], 0 offset:252 ; 4-byte Folded Reload
	s_waitcnt vmcnt(1)
	v_xor_b32_e32 v46, vcc_hi, v46
	v_and_b32_e32 v44, v44, v46
	v_cndmask_b32_e64 v46, 0, 1, s[6:7]
	v_cmp_ne_u32_e32 vcc, 0, v46
	buffer_load_dword v46, off, s[96:99], 0 offset:656 ; 4-byte Folded Reload
	s_waitcnt vmcnt(1)
	v_xor_b32_e32 v47, vcc_lo, v47
	v_and_b32_e32 v45, v45, v47
	s_waitcnt vmcnt(0)
	v_xor_b32_e32 v46, vcc_hi, v46
	v_and_b32_e32 v44, v44, v46
	v_mbcnt_lo_u32_b32 v46, v45, 0
	v_mbcnt_hi_u32_b32 v46, v44, v46
	v_cmp_eq_u32_e32 vcc, 0, v46
	s_and_saveexec_b64 s[6:7], vcc
	s_cbranch_execz .LBB11_18
; %bb.17:                               ;   in Loop: Header=BB11_2 Depth=1
	v_bcnt_u32_b32 v45, v45, 0
	v_bcnt_u32_b32 v44, v44, v45
	buffer_load_dword v45, off, s[96:99], 0 offset:736 ; 4-byte Folded Reload
	s_waitcnt vmcnt(0)
	ds_add_u32 v45, v44
.LBB11_18:                              ;   in Loop: Header=BB11_2 Depth=1
	s_or_b64 exec, exec, s[6:7]
	v_cndmask_b32_e64 v44, 0, 1, s[84:85]
	v_cmp_ne_u32_e32 vcc, 0, v44
	buffer_load_dword v44, off, s[96:99], 0 offset:400 ; 4-byte Folded Reload
	buffer_load_dword v45, off, s[96:99], 0 offset:332 ; 4-byte Folded Reload
	;; [unrolled: 1-line block ×3, first 2 shown]
	v_readlane_b32 s6, v125, 52
	v_readlane_b32 s7, v125, 53
	v_cndmask_b32_e64 v46, 0, 1, s[6:7]
	v_readlane_b32 s6, v125, 54
	v_readlane_b32 s7, v125, 55
	s_waitcnt vmcnt(2)
	v_xor_b32_e32 v44, vcc_hi, v44
	s_waitcnt vmcnt(1)
	v_xor_b32_e32 v45, vcc_lo, v45
	v_cmp_ne_u32_e32 vcc, 0, v46
	buffer_load_dword v46, off, s[96:99], 0 offset:660 ; 4-byte Folded Reload
	v_and_b32_e32 v45, exec_lo, v45
	s_waitcnt vmcnt(1)
	v_xor_b32_e32 v47, vcc_lo, v47
	v_and_b32_e32 v44, exec_hi, v44
	v_and_b32_e32 v45, v45, v47
	buffer_load_dword v47, off, s[96:99], 0 offset:260 ; 4-byte Folded Reload
	s_waitcnt vmcnt(1)
	v_xor_b32_e32 v46, vcc_hi, v46
	v_and_b32_e32 v44, v44, v46
	v_cndmask_b32_e64 v46, 0, 1, s[6:7]
	v_cmp_ne_u32_e32 vcc, 0, v46
	buffer_load_dword v46, off, s[96:99], 0 offset:664 ; 4-byte Folded Reload
	s_waitcnt vmcnt(1)
	v_xor_b32_e32 v47, vcc_lo, v47
	v_readlane_b32 s6, v125, 56
	v_and_b32_e32 v45, v45, v47
	v_readlane_b32 s7, v125, 57
	buffer_load_dword v47, off, s[96:99], 0 offset:264 ; 4-byte Folded Reload
	s_waitcnt vmcnt(1)
	v_xor_b32_e32 v46, vcc_hi, v46
	v_and_b32_e32 v44, v44, v46
	v_cndmask_b32_e64 v46, 0, 1, s[6:7]
	v_cmp_ne_u32_e32 vcc, 0, v46
	buffer_load_dword v46, off, s[96:99], 0 offset:668 ; 4-byte Folded Reload
	s_waitcnt vmcnt(1)
	v_xor_b32_e32 v47, vcc_lo, v47
	v_readlane_b32 s6, v125, 58
	v_and_b32_e32 v45, v45, v47
	v_readlane_b32 s7, v125, 59
	;; [unrolled: 12-line block ×6, first 2 shown]
	buffer_load_dword v47, off, s[96:99], 0 offset:284 ; 4-byte Folded Reload
	s_waitcnt vmcnt(1)
	v_xor_b32_e32 v46, vcc_hi, v46
	v_and_b32_e32 v44, v44, v46
	v_cndmask_b32_e64 v46, 0, 1, s[6:7]
	v_cmp_ne_u32_e32 vcc, 0, v46
	buffer_load_dword v46, off, s[96:99], 0 offset:688 ; 4-byte Folded Reload
	s_waitcnt vmcnt(1)
	v_xor_b32_e32 v47, vcc_lo, v47
	v_and_b32_e32 v45, v45, v47
	s_waitcnt vmcnt(0)
	v_xor_b32_e32 v46, vcc_hi, v46
	v_and_b32_e32 v44, v44, v46
	v_mbcnt_lo_u32_b32 v46, v45, 0
	v_mbcnt_hi_u32_b32 v46, v44, v46
	v_cmp_eq_u32_e32 vcc, 0, v46
	s_and_saveexec_b64 s[6:7], vcc
	s_cbranch_execz .LBB11_20
; %bb.19:                               ;   in Loop: Header=BB11_2 Depth=1
	v_bcnt_u32_b32 v45, v45, 0
	v_bcnt_u32_b32 v44, v44, v45
	buffer_load_dword v45, off, s[96:99], 0 offset:740 ; 4-byte Folded Reload
	s_waitcnt vmcnt(0)
	ds_add_u32 v45, v44
.LBB11_20:                              ;   in Loop: Header=BB11_2 Depth=1
	s_or_b64 exec, exec, s[6:7]
	v_cndmask_b32_e64 v44, 0, 1, s[86:87]
	v_cmp_ne_u32_e32 vcc, 0, v44
	buffer_load_dword v44, off, s[96:99], 0 offset:404 ; 4-byte Folded Reload
	buffer_load_dword v45, off, s[96:99], 0 offset:336 ; 4-byte Folded Reload
	;; [unrolled: 1-line block ×3, first 2 shown]
	v_readlane_b32 s6, v126, 4
	v_readlane_b32 s7, v126, 5
	v_cndmask_b32_e64 v46, 0, 1, s[6:7]
	v_readlane_b32 s6, v126, 6
	v_readlane_b32 s7, v126, 7
	s_waitcnt vmcnt(2)
	v_xor_b32_e32 v44, vcc_hi, v44
	s_waitcnt vmcnt(1)
	v_xor_b32_e32 v45, vcc_lo, v45
	v_cmp_ne_u32_e32 vcc, 0, v46
	buffer_load_dword v46, off, s[96:99], 0 offset:692 ; 4-byte Folded Reload
	v_and_b32_e32 v45, exec_lo, v45
	s_waitcnt vmcnt(1)
	v_xor_b32_e32 v47, vcc_lo, v47
	v_and_b32_e32 v45, v45, v47
	buffer_load_dword v47, off, s[96:99], 0 offset:292 ; 4-byte Folded Reload
	v_and_b32_e32 v44, exec_hi, v44
	s_waitcnt vmcnt(1)
	v_xor_b32_e32 v46, vcc_hi, v46
	v_and_b32_e32 v44, v44, v46
	v_cndmask_b32_e64 v46, 0, 1, s[6:7]
	v_cmp_ne_u32_e32 vcc, 0, v46
	buffer_load_dword v46, off, s[96:99], 0 offset:696 ; 4-byte Folded Reload
	s_waitcnt vmcnt(1)
	v_xor_b32_e32 v47, vcc_lo, v47
	v_and_b32_e32 v45, v45, v47
	buffer_load_dword v47, off, s[96:99], 0 offset:296 ; 4-byte Folded Reload
	v_readlane_b32 s6, v126, 8
	v_readlane_b32 s7, v126, 9
	s_waitcnt vmcnt(1)
	v_xor_b32_e32 v46, vcc_hi, v46
	v_and_b32_e32 v44, v44, v46
	v_cndmask_b32_e64 v46, 0, 1, s[6:7]
	v_cmp_ne_u32_e32 vcc, 0, v46
	buffer_load_dword v46, off, s[96:99], 0 offset:700 ; 4-byte Folded Reload
	s_waitcnt vmcnt(1)
	v_xor_b32_e32 v47, vcc_lo, v47
	v_and_b32_e32 v45, v45, v47
	buffer_load_dword v47, off, s[96:99], 0 offset:300 ; 4-byte Folded Reload
	v_readlane_b32 s6, v126, 10
	v_readlane_b32 s7, v126, 11
	;; [unrolled: 12-line block ×3, first 2 shown]
	s_waitcnt vmcnt(1)
	v_xor_b32_e32 v46, vcc_hi, v46
	v_and_b32_e32 v44, v44, v46
	v_cndmask_b32_e64 v46, 0, 1, s[6:7]
	v_cmp_ne_u32_e32 vcc, 0, v46
	v_readlane_b32 s6, v126, 14
	v_xor_b32_e32 v46, vcc_hi, v11
	v_readlane_b32 s7, v126, 15
	v_and_b32_e32 v44, v44, v46
	v_cndmask_b32_e64 v46, 0, 1, s[6:7]
	s_waitcnt vmcnt(0)
	v_xor_b32_e32 v47, vcc_lo, v47
	v_cmp_ne_u32_e32 vcc, 0, v46
	v_readlane_b32 s6, v126, 16
	v_xor_b32_e32 v46, vcc_hi, v22
	v_readlane_b32 s7, v126, 17
	v_and_b32_e32 v44, v44, v46
	v_cndmask_b32_e64 v46, 0, 1, s[6:7]
	v_and_b32_e32 v45, v45, v47
	v_xor_b32_e32 v47, vcc_lo, v54
	v_cmp_ne_u32_e32 vcc, 0, v46
	v_readlane_b32 s6, v126, 18
	v_xor_b32_e32 v46, vcc_hi, v92
	v_readlane_b32 s7, v126, 19
	v_and_b32_e32 v44, v44, v46
	v_cndmask_b32_e64 v46, 0, 1, s[6:7]
	v_and_b32_e32 v45, v45, v47
	v_xor_b32_e32 v47, vcc_lo, v70
	v_cmp_ne_u32_e32 vcc, 0, v46
	v_and_b32_e32 v45, v45, v47
	v_xor_b32_e32 v47, vcc_lo, v9
	v_xor_b32_e32 v46, vcc_hi, v23
	v_and_b32_e32 v45, v45, v47
	v_and_b32_e32 v44, v44, v46
	v_mbcnt_lo_u32_b32 v46, v45, 0
	v_mbcnt_hi_u32_b32 v46, v44, v46
	v_cmp_eq_u32_e32 vcc, 0, v46
	s_and_saveexec_b64 s[6:7], vcc
	s_cbranch_execz .LBB11_22
; %bb.21:                               ;   in Loop: Header=BB11_2 Depth=1
	v_bcnt_u32_b32 v45, v45, 0
	v_bcnt_u32_b32 v44, v44, v45
	buffer_load_dword v45, off, s[96:99], 0 offset:744 ; 4-byte Folded Reload
	s_waitcnt vmcnt(0)
	ds_add_u32 v45, v44
.LBB11_22:                              ;   in Loop: Header=BB11_2 Depth=1
	s_or_b64 exec, exec, s[6:7]
	v_cndmask_b32_e64 v44, 0, 1, s[88:89]
	v_cmp_ne_u32_e32 vcc, 0, v44
	buffer_load_dword v44, off, s[96:99], 0 offset:408 ; 4-byte Folded Reload
	buffer_load_dword v45, off, s[96:99], 0 offset:340 ; 4-byte Folded Reload
	v_readlane_b32 s6, v126, 20
	v_readlane_b32 s7, v126, 21
	v_cndmask_b32_e64 v46, 0, 1, s[6:7]
	v_readlane_b32 s6, v126, 22
	v_readlane_b32 s7, v126, 23
	s_waitcnt vmcnt(1)
	v_xor_b32_e32 v44, vcc_hi, v44
	s_waitcnt vmcnt(0)
	v_xor_b32_e32 v45, vcc_lo, v45
	v_cmp_ne_u32_e32 vcc, 0, v46
	v_and_b32_e32 v44, exec_hi, v44
	v_xor_b32_e32 v46, vcc_hi, v94
	v_and_b32_e32 v44, v44, v46
	v_cndmask_b32_e64 v46, 0, 1, s[6:7]
	v_xor_b32_e32 v47, vcc_lo, v15
	v_cmp_ne_u32_e32 vcc, 0, v46
	v_readlane_b32 s6, v126, 24
	v_xor_b32_e32 v46, vcc_hi, v24
	v_readlane_b32 s7, v126, 25
	v_and_b32_e32 v45, exec_lo, v45
	v_and_b32_e32 v44, v44, v46
	v_cndmask_b32_e64 v46, 0, 1, s[6:7]
	v_and_b32_e32 v45, v45, v47
	v_xor_b32_e32 v47, vcc_lo, v48
	v_cmp_ne_u32_e32 vcc, 0, v46
	v_readlane_b32 s6, v126, 26
	v_xor_b32_e32 v46, vcc_hi, v95
	v_readlane_b32 s7, v126, 27
	v_and_b32_e32 v44, v44, v46
	v_cndmask_b32_e64 v46, 0, 1, s[6:7]
	v_and_b32_e32 v45, v45, v47
	v_xor_b32_e32 v47, vcc_lo, v71
	v_cmp_ne_u32_e32 vcc, 0, v46
	v_readlane_b32 s6, v126, 28
	v_xor_b32_e32 v46, vcc_hi, v25
	v_readlane_b32 s7, v126, 29
	;; [unrolled: 8-line block ×5, first 2 shown]
	v_and_b32_e32 v44, v44, v46
	v_cndmask_b32_e64 v46, 0, 1, s[6:7]
	v_and_b32_e32 v45, v45, v47
	v_xor_b32_e32 v47, vcc_lo, v16
	v_cmp_ne_u32_e32 vcc, 0, v46
	v_and_b32_e32 v45, v45, v47
	v_xor_b32_e32 v47, vcc_lo, v61
	v_xor_b32_e32 v46, vcc_hi, v98
	v_and_b32_e32 v45, v45, v47
	v_and_b32_e32 v44, v44, v46
	v_mbcnt_lo_u32_b32 v46, v45, 0
	v_mbcnt_hi_u32_b32 v46, v44, v46
	v_cmp_eq_u32_e32 vcc, 0, v46
	s_and_saveexec_b64 s[6:7], vcc
	s_cbranch_execz .LBB11_24
; %bb.23:                               ;   in Loop: Header=BB11_2 Depth=1
	v_bcnt_u32_b32 v45, v45, 0
	v_bcnt_u32_b32 v44, v44, v45
	buffer_load_dword v45, off, s[96:99], 0 offset:748 ; 4-byte Folded Reload
	s_waitcnt vmcnt(0)
	ds_add_u32 v45, v44
.LBB11_24:                              ;   in Loop: Header=BB11_2 Depth=1
	s_or_b64 exec, exec, s[6:7]
	v_cndmask_b32_e64 v44, 0, 1, s[90:91]
	v_cmp_ne_u32_e32 vcc, 0, v44
	buffer_load_dword v44, off, s[96:99], 0 offset:412 ; 4-byte Folded Reload
	buffer_load_dword v45, off, s[96:99], 0 offset:344 ; 4-byte Folded Reload
	v_readlane_b32 s6, v126, 36
	v_readlane_b32 s7, v126, 37
	v_cndmask_b32_e64 v46, 0, 1, s[6:7]
	v_readlane_b32 s6, v126, 38
	v_readlane_b32 s7, v126, 39
	s_waitcnt vmcnt(1)
	v_xor_b32_e32 v44, vcc_hi, v44
	s_waitcnt vmcnt(0)
	v_xor_b32_e32 v45, vcc_lo, v45
	v_cmp_ne_u32_e32 vcc, 0, v46
	v_and_b32_e32 v44, exec_hi, v44
	v_xor_b32_e32 v46, vcc_hi, v99
	v_and_b32_e32 v44, v44, v46
	v_cndmask_b32_e64 v46, 0, 1, s[6:7]
	v_xor_b32_e32 v47, vcc_lo, v73
	v_cmp_ne_u32_e32 vcc, 0, v46
	v_readlane_b32 s6, v126, 40
	v_xor_b32_e32 v46, vcc_hi, v27
	v_readlane_b32 s7, v126, 41
	v_and_b32_e32 v45, exec_lo, v45
	v_and_b32_e32 v44, v44, v46
	v_cndmask_b32_e64 v46, 0, 1, s[6:7]
	v_and_b32_e32 v45, v45, v47
	v_xor_b32_e32 v47, vcc_lo, v52
	v_cmp_ne_u32_e32 vcc, 0, v46
	v_readlane_b32 s6, v126, 42
	v_xor_b32_e32 v46, vcc_hi, v100
	v_readlane_b32 s7, v126, 43
	v_and_b32_e32 v44, v44, v46
	v_cndmask_b32_e64 v46, 0, 1, s[6:7]
	v_and_b32_e32 v45, v45, v47
	v_xor_b32_e32 v47, vcc_lo, v74
	v_cmp_ne_u32_e32 vcc, 0, v46
	v_readlane_b32 s6, v126, 44
	v_xor_b32_e32 v46, vcc_hi, v101
	v_readlane_b32 s7, v126, 45
	;; [unrolled: 8-line block ×5, first 2 shown]
	v_and_b32_e32 v44, v44, v46
	v_cndmask_b32_e64 v46, 0, 1, s[6:7]
	v_and_b32_e32 v45, v45, v47
	v_xor_b32_e32 v47, vcc_lo, v75
	v_cmp_ne_u32_e32 vcc, 0, v46
	v_and_b32_e32 v45, v45, v47
	v_xor_b32_e32 v47, vcc_lo, v10
	v_xor_b32_e32 v46, vcc_hi, v104
	v_and_b32_e32 v45, v45, v47
	v_and_b32_e32 v44, v44, v46
	v_mbcnt_lo_u32_b32 v46, v45, 0
	v_mbcnt_hi_u32_b32 v46, v44, v46
	v_cmp_eq_u32_e32 vcc, 0, v46
	s_and_saveexec_b64 s[6:7], vcc
	s_cbranch_execz .LBB11_26
; %bb.25:                               ;   in Loop: Header=BB11_2 Depth=1
	v_bcnt_u32_b32 v45, v45, 0
	v_bcnt_u32_b32 v44, v44, v45
	buffer_load_dword v45, off, s[96:99], 0 offset:752 ; 4-byte Folded Reload
	s_waitcnt vmcnt(0)
	ds_add_u32 v45, v44
.LBB11_26:                              ;   in Loop: Header=BB11_2 Depth=1
	s_or_b64 exec, exec, s[6:7]
	v_cndmask_b32_e64 v44, 0, 1, s[92:93]
	v_cmp_ne_u32_e32 vcc, 0, v44
	buffer_load_dword v44, off, s[96:99], 0 offset:416 ; 4-byte Folded Reload
	buffer_load_dword v45, off, s[96:99], 0 offset:348 ; 4-byte Folded Reload
	v_readlane_b32 s6, v126, 52
	v_readlane_b32 s7, v126, 53
	v_cndmask_b32_e64 v46, 0, 1, s[6:7]
	v_readlane_b32 s6, v126, 54
	v_readlane_b32 s7, v126, 55
	s_waitcnt vmcnt(1)
	v_xor_b32_e32 v44, vcc_hi, v44
	s_waitcnt vmcnt(0)
	v_xor_b32_e32 v45, vcc_lo, v45
	v_cmp_ne_u32_e32 vcc, 0, v46
	v_and_b32_e32 v44, exec_hi, v44
	v_xor_b32_e32 v46, vcc_hi, v105
	v_and_b32_e32 v44, v44, v46
	v_cndmask_b32_e64 v46, 0, 1, s[6:7]
	v_xor_b32_e32 v47, vcc_lo, v76
	v_cmp_ne_u32_e32 vcc, 0, v46
	v_readlane_b32 s6, v126, 56
	v_xor_b32_e32 v46, vcc_hi, v29
	v_readlane_b32 s7, v126, 57
	v_and_b32_e32 v45, exec_lo, v45
	v_and_b32_e32 v44, v44, v46
	v_cndmask_b32_e64 v46, 0, 1, s[6:7]
	v_and_b32_e32 v45, v45, v47
	v_xor_b32_e32 v47, vcc_lo, v50
	v_cmp_ne_u32_e32 vcc, 0, v46
	v_readlane_b32 s6, v126, 58
	v_xor_b32_e32 v46, vcc_hi, v106
	v_readlane_b32 s7, v126, 59
	v_and_b32_e32 v44, v44, v46
	v_cndmask_b32_e64 v46, 0, 1, s[6:7]
	v_and_b32_e32 v45, v45, v47
	v_xor_b32_e32 v47, vcc_lo, v18
	v_cmp_ne_u32_e32 vcc, 0, v46
	v_readlane_b32 s6, v126, 60
	v_xor_b32_e32 v46, vcc_hi, v107
	v_readlane_b32 s7, v126, 61
	;; [unrolled: 8-line block ×5, first 2 shown]
	v_and_b32_e32 v44, v44, v46
	v_cndmask_b32_e64 v46, 0, 1, s[6:7]
	v_and_b32_e32 v45, v45, v47
	v_xor_b32_e32 v47, vcc_lo, v78
	v_cmp_ne_u32_e32 vcc, 0, v46
	v_and_b32_e32 v45, v45, v47
	v_xor_b32_e32 v47, vcc_lo, v64
	v_xor_b32_e32 v46, vcc_hi, v110
	v_and_b32_e32 v45, v45, v47
	v_and_b32_e32 v44, v44, v46
	v_mbcnt_lo_u32_b32 v46, v45, 0
	v_mbcnt_hi_u32_b32 v46, v44, v46
	v_cmp_eq_u32_e32 vcc, 0, v46
	s_and_saveexec_b64 s[6:7], vcc
	s_cbranch_execz .LBB11_28
; %bb.27:                               ;   in Loop: Header=BB11_2 Depth=1
	v_bcnt_u32_b32 v45, v45, 0
	v_bcnt_u32_b32 v44, v44, v45
	buffer_load_dword v45, off, s[96:99], 0 offset:756 ; 4-byte Folded Reload
	s_waitcnt vmcnt(0)
	ds_add_u32 v45, v44
.LBB11_28:                              ;   in Loop: Header=BB11_2 Depth=1
	s_or_b64 exec, exec, s[6:7]
	v_cndmask_b32_e64 v44, 0, 1, s[94:95]
	v_cmp_ne_u32_e32 vcc, 0, v44
	buffer_load_dword v44, off, s[96:99], 0 offset:420 ; 4-byte Folded Reload
	buffer_load_dword v45, off, s[96:99], 0 offset:352 ; 4-byte Folded Reload
	v_readlane_b32 s6, v127, 4
	v_readlane_b32 s7, v127, 5
	v_cndmask_b32_e64 v46, 0, 1, s[6:7]
	v_readlane_b32 s6, v127, 6
	v_readlane_b32 s7, v127, 7
	s_waitcnt vmcnt(1)
	v_xor_b32_e32 v44, vcc_hi, v44
	s_waitcnt vmcnt(0)
	v_xor_b32_e32 v45, vcc_lo, v45
	v_cmp_ne_u32_e32 vcc, 0, v46
	v_and_b32_e32 v44, exec_hi, v44
	v_xor_b32_e32 v46, vcc_hi, v119
	v_and_b32_e32 v44, v44, v46
	v_cndmask_b32_e64 v46, 0, 1, s[6:7]
	v_xor_b32_e32 v47, vcc_lo, v79
	v_cmp_ne_u32_e32 vcc, 0, v46
	v_readlane_b32 s6, v127, 8
	v_xor_b32_e32 v46, vcc_hi, v31
	v_readlane_b32 s7, v127, 9
	v_and_b32_e32 v45, exec_lo, v45
	v_and_b32_e32 v44, v44, v46
	v_cndmask_b32_e64 v46, 0, 1, s[6:7]
	v_and_b32_e32 v45, v45, v47
	v_xor_b32_e32 v47, vcc_lo, v53
	v_cmp_ne_u32_e32 vcc, 0, v46
	v_readlane_b32 s6, v127, 10
	v_xor_b32_e32 v46, vcc_hi, v120
	v_readlane_b32 s7, v127, 11
	v_and_b32_e32 v44, v44, v46
	v_cndmask_b32_e64 v46, 0, 1, s[6:7]
	v_and_b32_e32 v45, v45, v47
	v_xor_b32_e32 v47, vcc_lo, v80
	v_cmp_ne_u32_e32 vcc, 0, v46
	v_readlane_b32 s6, v127, 12
	v_xor_b32_e32 v46, vcc_hi, v121
	v_readlane_b32 s7, v127, 13
	;; [unrolled: 8-line block ×5, first 2 shown]
	v_and_b32_e32 v44, v44, v46
	v_cndmask_b32_e64 v46, 0, 1, s[6:7]
	v_and_b32_e32 v45, v45, v47
	v_xor_b32_e32 v47, vcc_lo, v81
	v_cmp_ne_u32_e32 vcc, 0, v46
	v_and_b32_e32 v45, v45, v47
	v_xor_b32_e32 v47, vcc_lo, v65
	v_xor_b32_e32 v46, vcc_hi, v111
	v_and_b32_e32 v45, v45, v47
	v_and_b32_e32 v44, v44, v46
	v_mbcnt_lo_u32_b32 v46, v45, 0
	v_mbcnt_hi_u32_b32 v46, v44, v46
	v_cmp_eq_u32_e32 vcc, 0, v46
	s_and_saveexec_b64 s[6:7], vcc
	s_cbranch_execz .LBB11_30
; %bb.29:                               ;   in Loop: Header=BB11_2 Depth=1
	v_bcnt_u32_b32 v45, v45, 0
	v_bcnt_u32_b32 v44, v44, v45
	buffer_load_dword v45, off, s[96:99], 0 offset:760 ; 4-byte Folded Reload
	s_waitcnt vmcnt(0)
	ds_add_u32 v45, v44
.LBB11_30:                              ;   in Loop: Header=BB11_2 Depth=1
	s_or_b64 exec, exec, s[6:7]
	v_cndmask_b32_e64 v44, 0, 1, s[0:1]
	v_cmp_ne_u32_e32 vcc, 0, v44
	buffer_load_dword v44, off, s[96:99], 0 offset:424 ; 4-byte Folded Reload
	buffer_load_dword v45, off, s[96:99], 0 offset:356 ; 4-byte Folded Reload
	v_readlane_b32 s6, v127, 20
	v_readlane_b32 s7, v127, 21
	v_cndmask_b32_e64 v46, 0, 1, s[6:7]
	v_readlane_b32 s6, v127, 22
	v_readlane_b32 s7, v127, 23
	s_waitcnt vmcnt(1)
	v_xor_b32_e32 v44, vcc_hi, v44
	s_waitcnt vmcnt(0)
	v_xor_b32_e32 v45, vcc_lo, v45
	v_cmp_ne_u32_e32 vcc, 0, v46
	v_and_b32_e32 v44, exec_hi, v44
	v_xor_b32_e32 v46, vcc_hi, v112
	v_and_b32_e32 v44, v44, v46
	v_cndmask_b32_e64 v46, 0, 1, s[6:7]
	v_xor_b32_e32 v47, vcc_lo, v82
	v_cmp_ne_u32_e32 vcc, 0, v46
	v_readlane_b32 s6, v127, 24
	v_xor_b32_e32 v46, vcc_hi, v113
	v_readlane_b32 s7, v127, 25
	v_and_b32_e32 v45, exec_lo, v45
	v_and_b32_e32 v44, v44, v46
	v_cndmask_b32_e64 v46, 0, 1, s[6:7]
	v_and_b32_e32 v45, v45, v47
	v_xor_b32_e32 v47, vcc_lo, v49
	v_cmp_ne_u32_e32 vcc, 0, v46
	v_readlane_b32 s6, v127, 26
	v_xor_b32_e32 v46, vcc_hi, v33
	v_readlane_b32 s7, v127, 27
	v_and_b32_e32 v44, v44, v46
	v_cndmask_b32_e64 v46, 0, 1, s[6:7]
	v_and_b32_e32 v45, v45, v47
	v_xor_b32_e32 v47, vcc_lo, v83
	v_cmp_ne_u32_e32 vcc, 0, v46
	v_readlane_b32 s6, v127, 28
	v_xor_b32_e32 v46, vcc_hi, v114
	v_readlane_b32 s7, v127, 29
	v_and_b32_e32 v44, v44, v46
	v_cndmask_b32_e64 v46, 0, 1, s[6:7]
	v_and_b32_e32 v45, v45, v47
	v_xor_b32_e32 v47, vcc_lo, v66
	v_cmp_ne_u32_e32 vcc, 0, v46
	v_xor_b32_e32 v46, vcc_hi, v115
	v_and_b32_e32 v44, v44, v46
	v_cndmask_b32_e64 v46, 0, 1, s[28:29]
	v_and_b32_e32 v45, v45, v47
	v_xor_b32_e32 v47, vcc_lo, v84
	v_cmp_ne_u32_e32 vcc, 0, v46
	v_xor_b32_e32 v46, vcc_hi, v116
	;; [unrolled: 6-line block ×3, first 2 shown]
	v_and_b32_e32 v44, v44, v46
	v_cndmask_b32_e64 v46, 0, 1, s[34:35]
	v_and_b32_e32 v45, v45, v47
	v_xor_b32_e32 v47, vcc_lo, v20
	v_cmp_ne_u32_e32 vcc, 0, v46
	v_and_b32_e32 v45, v45, v47
	v_xor_b32_e32 v47, vcc_lo, v13
	v_xor_b32_e32 v46, vcc_hi, v117
	v_and_b32_e32 v45, v45, v47
	v_and_b32_e32 v44, v44, v46
	v_mbcnt_lo_u32_b32 v46, v45, 0
	v_mbcnt_hi_u32_b32 v46, v44, v46
	v_cmp_eq_u32_e32 vcc, 0, v46
	s_and_saveexec_b64 s[6:7], vcc
	s_cbranch_execz .LBB11_32
; %bb.31:                               ;   in Loop: Header=BB11_2 Depth=1
	v_bcnt_u32_b32 v45, v45, 0
	v_bcnt_u32_b32 v44, v44, v45
	buffer_load_dword v45, off, s[96:99], 0 offset:764 ; 4-byte Folded Reload
	s_waitcnt vmcnt(0)
	ds_add_u32 v45, v44
.LBB11_32:                              ;   in Loop: Header=BB11_2 Depth=1
	s_or_b64 exec, exec, s[6:7]
	v_cndmask_b32_e64 v44, 0, 1, s[2:3]
	v_cmp_ne_u32_e32 vcc, 0, v44
	buffer_load_dword v44, off, s[96:99], 0 offset:428 ; 4-byte Folded Reload
	buffer_load_dword v45, off, s[96:99], 0 offset:360 ; 4-byte Folded Reload
	v_cndmask_b32_e64 v46, 0, 1, s[36:37]
	s_waitcnt vmcnt(1)
	v_xor_b32_e32 v44, vcc_hi, v44
	s_waitcnt vmcnt(0)
	v_xor_b32_e32 v45, vcc_lo, v45
	v_cmp_ne_u32_e32 vcc, 0, v46
	v_and_b32_e32 v44, exec_hi, v44
	v_xor_b32_e32 v46, vcc_hi, v118
	v_and_b32_e32 v44, v44, v46
	v_cndmask_b32_e64 v46, 0, 1, s[38:39]
	v_xor_b32_e32 v47, vcc_lo, v85
	v_cmp_ne_u32_e32 vcc, 0, v46
	v_xor_b32_e32 v46, vcc_hi, v0
	v_and_b32_e32 v45, exec_lo, v45
	v_and_b32_e32 v44, v44, v46
	v_cndmask_b32_e64 v46, 0, 1, s[40:41]
	v_and_b32_e32 v45, v45, v47
	v_xor_b32_e32 v47, vcc_lo, v6
	v_cmp_ne_u32_e32 vcc, 0, v46
	v_xor_b32_e32 v46, vcc_hi, v1
	v_and_b32_e32 v44, v44, v46
	v_cndmask_b32_e64 v46, 0, 1, s[42:43]
	v_and_b32_e32 v45, v45, v47
	v_xor_b32_e32 v47, vcc_lo, v86
	v_cmp_ne_u32_e32 vcc, 0, v46
	v_xor_b32_e32 v46, vcc_hi, v2
	;; [unrolled: 6-line block ×5, first 2 shown]
	v_and_b32_e32 v44, v44, v46
	v_cndmask_b32_e64 v46, 0, 1, s[50:51]
	v_and_b32_e32 v45, v45, v47
	v_xor_b32_e32 v47, vcc_lo, v88
	v_cmp_ne_u32_e32 vcc, 0, v46
	v_and_b32_e32 v45, v45, v47
	v_xor_b32_e32 v47, vcc_lo, v68
	v_xor_b32_e32 v46, vcc_hi, v35
	v_and_b32_e32 v45, v45, v47
	v_and_b32_e32 v44, v44, v46
	v_mbcnt_lo_u32_b32 v46, v45, 0
	v_mbcnt_hi_u32_b32 v46, v44, v46
	v_cmp_eq_u32_e32 vcc, 0, v46
	s_and_saveexec_b64 s[6:7], vcc
	s_cbranch_execz .LBB11_34
; %bb.33:                               ;   in Loop: Header=BB11_2 Depth=1
	v_bcnt_u32_b32 v45, v45, 0
	v_bcnt_u32_b32 v44, v44, v45
	buffer_load_dword v45, off, s[96:99], 0 offset:768 ; 4-byte Folded Reload
	s_waitcnt vmcnt(0)
	ds_add_u32 v45, v44
.LBB11_34:                              ;   in Loop: Header=BB11_2 Depth=1
	s_or_b64 exec, exec, s[6:7]
	v_cndmask_b32_e64 v44, 0, 1, s[4:5]
	v_cmp_ne_u32_e32 vcc, 0, v44
	buffer_load_dword v44, off, s[96:99], 0 offset:432 ; 4-byte Folded Reload
	buffer_load_dword v45, off, s[96:99], 0 offset:364 ; 4-byte Folded Reload
	v_cndmask_b32_e64 v46, 0, 1, s[52:53]
	s_waitcnt vmcnt(1)
	v_xor_b32_e32 v44, vcc_hi, v44
	s_waitcnt vmcnt(0)
	v_xor_b32_e32 v45, vcc_lo, v45
	v_cmp_ne_u32_e32 vcc, 0, v46
	v_and_b32_e32 v44, exec_hi, v44
	v_xor_b32_e32 v46, vcc_hi, v36
	v_and_b32_e32 v44, v44, v46
	v_cndmask_b32_e64 v46, 0, 1, s[54:55]
	v_xor_b32_e32 v47, vcc_lo, v89
	v_cmp_ne_u32_e32 vcc, 0, v46
	v_xor_b32_e32 v46, vcc_hi, v37
	v_and_b32_e32 v45, exec_lo, v45
	v_and_b32_e32 v44, v44, v46
	v_cndmask_b32_e64 v46, 0, 1, s[56:57]
	v_and_b32_e32 v45, v45, v47
	v_xor_b32_e32 v47, vcc_lo, v51
	v_cmp_ne_u32_e32 vcc, 0, v46
	v_xor_b32_e32 v46, vcc_hi, v38
	v_and_b32_e32 v44, v44, v46
	v_cndmask_b32_e64 v46, 0, 1, s[58:59]
	v_and_b32_e32 v45, v45, v47
	v_xor_b32_e32 v47, vcc_lo, v21
	v_cmp_ne_u32_e32 vcc, 0, v46
	v_xor_b32_e32 v46, vcc_hi, v39
	v_and_b32_e32 v44, v44, v46
	v_cndmask_b32_e64 v46, 0, 1, s[60:61]
	v_and_b32_e32 v45, v45, v47
	v_xor_b32_e32 v47, vcc_lo, v14
	v_cmp_ne_u32_e32 vcc, 0, v46
	v_xor_b32_e32 v46, vcc_hi, v40
	v_and_b32_e32 v44, v44, v46
	v_cndmask_b32_e64 v46, 0, 1, s[62:63]
	v_and_b32_e32 v45, v45, v47
	v_xor_b32_e32 v47, vcc_lo, v90
	v_cmp_ne_u32_e32 vcc, 0, v46
	v_xor_b32_e32 v46, vcc_hi, v41
	v_and_b32_e32 v44, v44, v46
	v_cndmask_b32_e64 v46, 0, 1, s[64:65]
	v_and_b32_e32 v45, v45, v47
	v_xor_b32_e32 v47, vcc_lo, v59
	v_cmp_ne_u32_e32 vcc, 0, v46
	v_xor_b32_e32 v46, vcc_hi, v42
	v_and_b32_e32 v44, v44, v46
	v_cndmask_b32_e64 v46, 0, 1, s[66:67]
	v_and_b32_e32 v45, v45, v47
	v_xor_b32_e32 v47, vcc_lo, v91
	v_cmp_ne_u32_e32 vcc, 0, v46
	v_and_b32_e32 v45, v45, v47
	v_xor_b32_e32 v47, vcc_lo, v69
	v_xor_b32_e32 v46, vcc_hi, v43
	v_and_b32_e32 v45, v45, v47
	v_and_b32_e32 v44, v44, v46
	v_mbcnt_lo_u32_b32 v46, v45, 0
	v_mbcnt_hi_u32_b32 v46, v44, v46
	v_cmp_eq_u32_e32 vcc, 0, v46
	s_and_saveexec_b64 s[6:7], vcc
	s_cbranch_execz .LBB11_1
; %bb.35:                               ;   in Loop: Header=BB11_2 Depth=1
	v_bcnt_u32_b32 v45, v45, 0
	v_bcnt_u32_b32 v44, v44, v45
	buffer_load_dword v45, off, s[96:99], 0 offset:772 ; 4-byte Folded Reload
	s_waitcnt vmcnt(0)
	ds_add_u32 v45, v44
	s_branch .LBB11_1
.LBB11_36:
	s_and_saveexec_b64 s[0:1], s[68:69]
	s_cbranch_execz .LBB11_38
; %bb.37:
	buffer_load_dword v0, off, s[96:99], 0 offset:888 ; 4-byte Folded Reload
	buffer_load_dword v1, off, s[96:99], 0 offset:892 ; 4-byte Folded Reload
	;; [unrolled: 1-line block ×3, first 2 shown]
	s_waitcnt vmcnt(1)
	v_mov_b32_e32 v1, 0
	v_readlane_b32 s0, v124, 0
	v_readlane_b32 s2, v124, 2
	;; [unrolled: 1-line block ×3, first 2 shown]
	v_mov_b32_e32 v2, s3
	v_readlane_b32 s1, v124, 1
	v_lshlrev_b64 v[0:1], 2, v[0:1]
	s_waitcnt vmcnt(0)
	ds_read_b32 v3, v3
	v_add_co_u32_e32 v0, vcc, s2, v0
	v_addc_co_u32_e32 v1, vcc, v2, v1, vcc
	s_waitcnt lgkmcnt(0)
	global_store_dword v[0:1], v3, off
.LBB11_38:
	s_endpgm
	.section	.rodata,"a",@progbits
	.p2align	6, 0x0
	.amdhsa_kernel _Z6kernelI9histogramILN6hipcub23BlockHistogramAlgorithmE0EEiLj320ELj16ELj320ELj100EEvPKT0_PS4_
		.amdhsa_group_segment_fixed_size 1280
		.amdhsa_private_segment_fixed_size 900
		.amdhsa_kernarg_size 16
		.amdhsa_user_sgpr_count 6
		.amdhsa_user_sgpr_private_segment_buffer 1
		.amdhsa_user_sgpr_dispatch_ptr 0
		.amdhsa_user_sgpr_queue_ptr 0
		.amdhsa_user_sgpr_kernarg_segment_ptr 1
		.amdhsa_user_sgpr_dispatch_id 0
		.amdhsa_user_sgpr_flat_scratch_init 0
		.amdhsa_user_sgpr_private_segment_size 0
		.amdhsa_uses_dynamic_stack 0
		.amdhsa_system_sgpr_private_segment_wavefront_offset 1
		.amdhsa_system_sgpr_workgroup_id_x 1
		.amdhsa_system_sgpr_workgroup_id_y 0
		.amdhsa_system_sgpr_workgroup_id_z 0
		.amdhsa_system_sgpr_workgroup_info 0
		.amdhsa_system_vgpr_workitem_id 0
		.amdhsa_next_free_vgpr 128
		.amdhsa_next_free_sgpr 100
		.amdhsa_reserve_vcc 1
		.amdhsa_reserve_flat_scratch 0
		.amdhsa_float_round_mode_32 0
		.amdhsa_float_round_mode_16_64 0
		.amdhsa_float_denorm_mode_32 3
		.amdhsa_float_denorm_mode_16_64 3
		.amdhsa_dx10_clamp 1
		.amdhsa_ieee_mode 1
		.amdhsa_fp16_overflow 0
		.amdhsa_exception_fp_ieee_invalid_op 0
		.amdhsa_exception_fp_denorm_src 0
		.amdhsa_exception_fp_ieee_div_zero 0
		.amdhsa_exception_fp_ieee_overflow 0
		.amdhsa_exception_fp_ieee_underflow 0
		.amdhsa_exception_fp_ieee_inexact 0
		.amdhsa_exception_int_div_zero 0
	.end_amdhsa_kernel
	.section	.text._Z6kernelI9histogramILN6hipcub23BlockHistogramAlgorithmE0EEiLj320ELj16ELj320ELj100EEvPKT0_PS4_,"axG",@progbits,_Z6kernelI9histogramILN6hipcub23BlockHistogramAlgorithmE0EEiLj320ELj16ELj320ELj100EEvPKT0_PS4_,comdat
.Lfunc_end11:
	.size	_Z6kernelI9histogramILN6hipcub23BlockHistogramAlgorithmE0EEiLj320ELj16ELj320ELj100EEvPKT0_PS4_, .Lfunc_end11-_Z6kernelI9histogramILN6hipcub23BlockHistogramAlgorithmE0EEiLj320ELj16ELj320ELj100EEvPKT0_PS4_
                                        ; -- End function
	.set _Z6kernelI9histogramILN6hipcub23BlockHistogramAlgorithmE0EEiLj320ELj16ELj320ELj100EEvPKT0_PS4_.num_vgpr, 128
	.set _Z6kernelI9histogramILN6hipcub23BlockHistogramAlgorithmE0EEiLj320ELj16ELj320ELj100EEvPKT0_PS4_.num_agpr, 0
	.set _Z6kernelI9histogramILN6hipcub23BlockHistogramAlgorithmE0EEiLj320ELj16ELj320ELj100EEvPKT0_PS4_.numbered_sgpr, 100
	.set _Z6kernelI9histogramILN6hipcub23BlockHistogramAlgorithmE0EEiLj320ELj16ELj320ELj100EEvPKT0_PS4_.num_named_barrier, 0
	.set _Z6kernelI9histogramILN6hipcub23BlockHistogramAlgorithmE0EEiLj320ELj16ELj320ELj100EEvPKT0_PS4_.private_seg_size, 900
	.set _Z6kernelI9histogramILN6hipcub23BlockHistogramAlgorithmE0EEiLj320ELj16ELj320ELj100EEvPKT0_PS4_.uses_vcc, 1
	.set _Z6kernelI9histogramILN6hipcub23BlockHistogramAlgorithmE0EEiLj320ELj16ELj320ELj100EEvPKT0_PS4_.uses_flat_scratch, 0
	.set _Z6kernelI9histogramILN6hipcub23BlockHistogramAlgorithmE0EEiLj320ELj16ELj320ELj100EEvPKT0_PS4_.has_dyn_sized_stack, 0
	.set _Z6kernelI9histogramILN6hipcub23BlockHistogramAlgorithmE0EEiLj320ELj16ELj320ELj100EEvPKT0_PS4_.has_recursion, 0
	.set _Z6kernelI9histogramILN6hipcub23BlockHistogramAlgorithmE0EEiLj320ELj16ELj320ELj100EEvPKT0_PS4_.has_indirect_call, 0
	.section	.AMDGPU.csdata,"",@progbits
; Kernel info:
; codeLenInByte = 19584
; TotalNumSgprs: 104
; NumVgprs: 128
; ScratchSize: 900
; MemoryBound: 0
; FloatMode: 240
; IeeeMode: 1
; LDSByteSize: 1280 bytes/workgroup (compile time only)
; SGPRBlocks: 12
; VGPRBlocks: 31
; NumSGPRsForWavesPerEU: 104
; NumVGPRsForWavesPerEU: 128
; Occupancy: 2
; WaveLimiterHint : 0
; COMPUTE_PGM_RSRC2:SCRATCH_EN: 1
; COMPUTE_PGM_RSRC2:USER_SGPR: 6
; COMPUTE_PGM_RSRC2:TRAP_HANDLER: 0
; COMPUTE_PGM_RSRC2:TGID_X_EN: 1
; COMPUTE_PGM_RSRC2:TGID_Y_EN: 0
; COMPUTE_PGM_RSRC2:TGID_Z_EN: 0
; COMPUTE_PGM_RSRC2:TIDIG_COMP_CNT: 0
	.section	.text._Z6kernelI9histogramILN6hipcub23BlockHistogramAlgorithmE0EEiLj512ELj1ELj512ELj100EEvPKT0_PS4_,"axG",@progbits,_Z6kernelI9histogramILN6hipcub23BlockHistogramAlgorithmE0EEiLj512ELj1ELj512ELj100EEvPKT0_PS4_,comdat
	.protected	_Z6kernelI9histogramILN6hipcub23BlockHistogramAlgorithmE0EEiLj512ELj1ELj512ELj100EEvPKT0_PS4_ ; -- Begin function _Z6kernelI9histogramILN6hipcub23BlockHistogramAlgorithmE0EEiLj512ELj1ELj512ELj100EEvPKT0_PS4_
	.globl	_Z6kernelI9histogramILN6hipcub23BlockHistogramAlgorithmE0EEiLj512ELj1ELj512ELj100EEvPKT0_PS4_
	.p2align	8
	.type	_Z6kernelI9histogramILN6hipcub23BlockHistogramAlgorithmE0EEiLj512ELj1ELj512ELj100EEvPKT0_PS4_,@function
_Z6kernelI9histogramILN6hipcub23BlockHistogramAlgorithmE0EEiLj512ELj1ELj512ELj100EEvPKT0_PS4_: ; @_Z6kernelI9histogramILN6hipcub23BlockHistogramAlgorithmE0EEiLj512ELj1ELj512ELj100EEvPKT0_PS4_
; %bb.0:
	s_load_dwordx4 s[20:23], s[4:5], 0x0
	s_lshl_b32 s0, s6, 9
	v_or_b32_e32 v1, s0, v0
	v_mov_b32_e32 v2, 0
	v_lshlrev_b64 v[3:4], 2, v[1:2]
	s_waitcnt lgkmcnt(0)
	v_mov_b32_e32 v5, s21
	v_add_co_u32_e32 v3, vcc, s20, v3
	v_addc_co_u32_e32 v4, vcc, v5, v4, vcc
	global_load_dword v3, v[3:4], off
	s_movk_i32 s0, 0x200
	v_mov_b32_e32 v4, v2
	v_cmp_gt_u32_e32 vcc, s0, v0
	v_mov_b32_e32 v6, v2
	v_mov_b32_e32 v8, v2
	;; [unrolled: 1-line block ×7, first 2 shown]
	s_movk_i32 s24, 0x64
	v_lshlrev_b32_e32 v0, 2, v0
	s_waitcnt vmcnt(0)
	v_lshlrev_b32_e32 v5, 30, v3
	v_and_b32_e32 v20, 1, v3
	v_cmp_gt_i64_e64 s[0:1], 0, v[4:5]
	v_add_co_u32_e64 v4, s[6:7], -1, v20
	v_lshlrev_b32_e32 v7, 29, v3
	v_lshlrev_b32_e32 v9, 28, v3
	;; [unrolled: 1-line block ×7, first 2 shown]
	v_not_b32_e32 v21, v5
	v_addc_co_u32_e64 v5, s[6:7], 0, -1, s[6:7]
	v_cmp_gt_i64_e64 s[4:5], 0, v[6:7]
	v_not_b32_e32 v7, v7
	v_cmp_gt_i64_e64 s[6:7], 0, v[8:9]
	v_not_b32_e32 v8, v9
	;; [unrolled: 2-line block ×4, first 2 shown]
	v_not_b32_e32 v11, v15
	v_not_b32_e32 v12, v17
	;; [unrolled: 1-line block ×3, first 2 shown]
	v_cmp_gt_i64_e64 s[12:13], 0, v[14:15]
	v_cmp_gt_i64_e64 s[14:15], 0, v[16:17]
	;; [unrolled: 1-line block ×3, first 2 shown]
	v_ashrrev_i32_e32 v6, 31, v21
	v_ashrrev_i32_e32 v7, 31, v7
	;; [unrolled: 1-line block ×8, first 2 shown]
	v_lshlrev_b32_e32 v3, 2, v3
	v_cmp_eq_u32_e64 s[2:3], 1, v20
	v_mov_b32_e32 v14, v6
	v_mov_b32_e32 v15, v7
	;; [unrolled: 1-line block ×8, first 2 shown]
	s_branch .LBB12_2
.LBB12_1:                               ;   in Loop: Header=BB12_2 Depth=1
	s_or_b64 exec, exec, s[20:21]
	s_add_i32 s24, s24, -1
	s_cmp_eq_u32 s24, 0
	s_waitcnt lgkmcnt(0)
	s_barrier
	s_cbranch_scc1 .LBB12_6
.LBB12_2:                               ; =>This Inner Loop Header: Depth=1
	s_and_saveexec_b64 s[18:19], vcc
; %bb.3:                                ;   in Loop: Header=BB12_2 Depth=1
	ds_write_b32 v0, v2
; %bb.4:                                ;   in Loop: Header=BB12_2 Depth=1
	s_or_b64 exec, exec, s[18:19]
	v_cndmask_b32_e64 v22, 0, 1, s[2:3]
	v_cmp_ne_u32_e64 s[18:19], 0, v22
	v_cndmask_b32_e64 v22, 0, 1, s[0:1]
	v_cmp_ne_u32_e64 s[20:21], 0, v22
	v_xor_b32_e32 v22, s19, v5
	v_and_b32_e32 v22, exec_hi, v22
	v_xor_b32_e32 v23, s21, v14
	v_and_b32_e32 v22, v22, v23
	v_xor_b32_e32 v23, s18, v4
	v_and_b32_e32 v23, exec_lo, v23
	v_xor_b32_e32 v24, s20, v6
	v_and_b32_e32 v23, v23, v24
	v_cndmask_b32_e64 v24, 0, 1, s[4:5]
	v_cmp_ne_u32_e64 s[18:19], 0, v24
	v_xor_b32_e32 v24, s19, v15
	v_and_b32_e32 v22, v22, v24
	v_xor_b32_e32 v24, s18, v7
	v_and_b32_e32 v23, v23, v24
	v_cndmask_b32_e64 v24, 0, 1, s[6:7]
	v_cmp_ne_u32_e64 s[18:19], 0, v24
	v_xor_b32_e32 v24, s19, v16
	v_and_b32_e32 v22, v22, v24
	;; [unrolled: 6-line block ×7, first 2 shown]
	v_xor_b32_e32 v24, s18, v13
	v_and_b32_e32 v23, v23, v24
	v_mbcnt_lo_u32_b32 v24, v23, 0
	v_mbcnt_hi_u32_b32 v24, v22, v24
	v_cmp_eq_u32_e64 s[18:19], 0, v24
	s_waitcnt lgkmcnt(0)
	s_barrier
	s_and_saveexec_b64 s[20:21], s[18:19]
	s_cbranch_execz .LBB12_1
; %bb.5:                                ;   in Loop: Header=BB12_2 Depth=1
	v_bcnt_u32_b32 v23, v23, 0
	v_bcnt_u32_b32 v22, v22, v23
	ds_add_u32 v3, v22
	s_branch .LBB12_1
.LBB12_6:
	s_and_saveexec_b64 s[0:1], vcc
	s_cbranch_execz .LBB12_8
; %bb.7:
	v_mov_b32_e32 v2, 0
	ds_read_b32 v4, v0
	v_lshlrev_b64 v[1:2], 2, v[1:2]
	v_mov_b32_e32 v3, s23
	v_add_co_u32_e32 v0, vcc, s22, v1
	v_addc_co_u32_e32 v1, vcc, v3, v2, vcc
	s_waitcnt lgkmcnt(0)
	global_store_dword v[0:1], v4, off
.LBB12_8:
	s_endpgm
	.section	.rodata,"a",@progbits
	.p2align	6, 0x0
	.amdhsa_kernel _Z6kernelI9histogramILN6hipcub23BlockHistogramAlgorithmE0EEiLj512ELj1ELj512ELj100EEvPKT0_PS4_
		.amdhsa_group_segment_fixed_size 2048
		.amdhsa_private_segment_fixed_size 0
		.amdhsa_kernarg_size 16
		.amdhsa_user_sgpr_count 6
		.amdhsa_user_sgpr_private_segment_buffer 1
		.amdhsa_user_sgpr_dispatch_ptr 0
		.amdhsa_user_sgpr_queue_ptr 0
		.amdhsa_user_sgpr_kernarg_segment_ptr 1
		.amdhsa_user_sgpr_dispatch_id 0
		.amdhsa_user_sgpr_flat_scratch_init 0
		.amdhsa_user_sgpr_private_segment_size 0
		.amdhsa_uses_dynamic_stack 0
		.amdhsa_system_sgpr_private_segment_wavefront_offset 0
		.amdhsa_system_sgpr_workgroup_id_x 1
		.amdhsa_system_sgpr_workgroup_id_y 0
		.amdhsa_system_sgpr_workgroup_id_z 0
		.amdhsa_system_sgpr_workgroup_info 0
		.amdhsa_system_vgpr_workitem_id 0
		.amdhsa_next_free_vgpr 25
		.amdhsa_next_free_sgpr 25
		.amdhsa_reserve_vcc 1
		.amdhsa_reserve_flat_scratch 0
		.amdhsa_float_round_mode_32 0
		.amdhsa_float_round_mode_16_64 0
		.amdhsa_float_denorm_mode_32 3
		.amdhsa_float_denorm_mode_16_64 3
		.amdhsa_dx10_clamp 1
		.amdhsa_ieee_mode 1
		.amdhsa_fp16_overflow 0
		.amdhsa_exception_fp_ieee_invalid_op 0
		.amdhsa_exception_fp_denorm_src 0
		.amdhsa_exception_fp_ieee_div_zero 0
		.amdhsa_exception_fp_ieee_overflow 0
		.amdhsa_exception_fp_ieee_underflow 0
		.amdhsa_exception_fp_ieee_inexact 0
		.amdhsa_exception_int_div_zero 0
	.end_amdhsa_kernel
	.section	.text._Z6kernelI9histogramILN6hipcub23BlockHistogramAlgorithmE0EEiLj512ELj1ELj512ELj100EEvPKT0_PS4_,"axG",@progbits,_Z6kernelI9histogramILN6hipcub23BlockHistogramAlgorithmE0EEiLj512ELj1ELj512ELj100EEvPKT0_PS4_,comdat
.Lfunc_end12:
	.size	_Z6kernelI9histogramILN6hipcub23BlockHistogramAlgorithmE0EEiLj512ELj1ELj512ELj100EEvPKT0_PS4_, .Lfunc_end12-_Z6kernelI9histogramILN6hipcub23BlockHistogramAlgorithmE0EEiLj512ELj1ELj512ELj100EEvPKT0_PS4_
                                        ; -- End function
	.set _Z6kernelI9histogramILN6hipcub23BlockHistogramAlgorithmE0EEiLj512ELj1ELj512ELj100EEvPKT0_PS4_.num_vgpr, 25
	.set _Z6kernelI9histogramILN6hipcub23BlockHistogramAlgorithmE0EEiLj512ELj1ELj512ELj100EEvPKT0_PS4_.num_agpr, 0
	.set _Z6kernelI9histogramILN6hipcub23BlockHistogramAlgorithmE0EEiLj512ELj1ELj512ELj100EEvPKT0_PS4_.numbered_sgpr, 25
	.set _Z6kernelI9histogramILN6hipcub23BlockHistogramAlgorithmE0EEiLj512ELj1ELj512ELj100EEvPKT0_PS4_.num_named_barrier, 0
	.set _Z6kernelI9histogramILN6hipcub23BlockHistogramAlgorithmE0EEiLj512ELj1ELj512ELj100EEvPKT0_PS4_.private_seg_size, 0
	.set _Z6kernelI9histogramILN6hipcub23BlockHistogramAlgorithmE0EEiLj512ELj1ELj512ELj100EEvPKT0_PS4_.uses_vcc, 1
	.set _Z6kernelI9histogramILN6hipcub23BlockHistogramAlgorithmE0EEiLj512ELj1ELj512ELj100EEvPKT0_PS4_.uses_flat_scratch, 0
	.set _Z6kernelI9histogramILN6hipcub23BlockHistogramAlgorithmE0EEiLj512ELj1ELj512ELj100EEvPKT0_PS4_.has_dyn_sized_stack, 0
	.set _Z6kernelI9histogramILN6hipcub23BlockHistogramAlgorithmE0EEiLj512ELj1ELj512ELj100EEvPKT0_PS4_.has_recursion, 0
	.set _Z6kernelI9histogramILN6hipcub23BlockHistogramAlgorithmE0EEiLj512ELj1ELj512ELj100EEvPKT0_PS4_.has_indirect_call, 0
	.section	.AMDGPU.csdata,"",@progbits
; Kernel info:
; codeLenInByte = 784
; TotalNumSgprs: 29
; NumVgprs: 25
; ScratchSize: 0
; MemoryBound: 0
; FloatMode: 240
; IeeeMode: 1
; LDSByteSize: 2048 bytes/workgroup (compile time only)
; SGPRBlocks: 3
; VGPRBlocks: 6
; NumSGPRsForWavesPerEU: 29
; NumVGPRsForWavesPerEU: 25
; Occupancy: 9
; WaveLimiterHint : 0
; COMPUTE_PGM_RSRC2:SCRATCH_EN: 0
; COMPUTE_PGM_RSRC2:USER_SGPR: 6
; COMPUTE_PGM_RSRC2:TRAP_HANDLER: 0
; COMPUTE_PGM_RSRC2:TGID_X_EN: 1
; COMPUTE_PGM_RSRC2:TGID_Y_EN: 0
; COMPUTE_PGM_RSRC2:TGID_Z_EN: 0
; COMPUTE_PGM_RSRC2:TIDIG_COMP_CNT: 0
	.section	.text._Z6kernelI9histogramILN6hipcub23BlockHistogramAlgorithmE0EEiLj512ELj2ELj512ELj100EEvPKT0_PS4_,"axG",@progbits,_Z6kernelI9histogramILN6hipcub23BlockHistogramAlgorithmE0EEiLj512ELj2ELj512ELj100EEvPKT0_PS4_,comdat
	.protected	_Z6kernelI9histogramILN6hipcub23BlockHistogramAlgorithmE0EEiLj512ELj2ELj512ELj100EEvPKT0_PS4_ ; -- Begin function _Z6kernelI9histogramILN6hipcub23BlockHistogramAlgorithmE0EEiLj512ELj2ELj512ELj100EEvPKT0_PS4_
	.globl	_Z6kernelI9histogramILN6hipcub23BlockHistogramAlgorithmE0EEiLj512ELj2ELj512ELj100EEvPKT0_PS4_
	.p2align	8
	.type	_Z6kernelI9histogramILN6hipcub23BlockHistogramAlgorithmE0EEiLj512ELj2ELj512ELj100EEvPKT0_PS4_,@function
_Z6kernelI9histogramILN6hipcub23BlockHistogramAlgorithmE0EEiLj512ELj2ELj512ELj100EEvPKT0_PS4_: ; @_Z6kernelI9histogramILN6hipcub23BlockHistogramAlgorithmE0EEiLj512ELj2ELj512ELj100EEvPKT0_PS4_
; %bb.0:
	s_load_dwordx4 s[40:43], s[4:5], 0x0
	v_lshlrev_b32_e32 v1, 1, v0
	v_lshl_or_b32 v1, s6, 10, v1
	v_mov_b32_e32 v2, 0
	v_lshlrev_b64 v[3:4], 2, v[1:2]
	s_waitcnt lgkmcnt(0)
	v_mov_b32_e32 v1, s41
	v_add_co_u32_e32 v3, vcc, s40, v3
	v_addc_co_u32_e32 v4, vcc, v1, v4, vcc
	global_load_dwordx2 v[3:4], v[3:4], off
	v_mov_b32_e32 v11, v2
	v_mov_b32_e32 v19, v2
	s_movk_i32 s0, 0x200
	v_mov_b32_e32 v5, v2
	v_mov_b32_e32 v7, v2
	v_mov_b32_e32 v9, v2
	v_mov_b32_e32 v13, v2
	v_mov_b32_e32 v15, v2
	v_mov_b32_e32 v17, v2
	v_mov_b32_e32 v21, v2
	v_mov_b32_e32 v23, v2
	v_mov_b32_e32 v25, v2
	v_mov_b32_e32 v27, v2
	v_mov_b32_e32 v29, v2
	v_mov_b32_e32 v31, v2
	v_mov_b32_e32 v33, v2
	v_mov_b32_e32 v35, v2
	v_cmp_gt_u32_e32 vcc, s0, v0
	s_movk_i32 s7, 0x64
	s_waitcnt vmcnt(0)
	v_lshlrev_b32_e32 v12, 27, v3
	v_lshlrev_b32_e32 v20, 23, v3
	v_and_b32_e32 v37, 1, v3
	v_lshlrev_b32_e32 v6, 30, v3
	v_lshlrev_b32_e32 v8, 29, v3
	;; [unrolled: 1-line block ×14, first 2 shown]
	v_cmp_gt_i64_e64 s[38:39], 0, v[11:12]
	v_cmp_gt_i64_e64 s[14:15], 0, v[19:20]
	v_not_b32_e32 v11, v20
	v_add_co_u32_e64 v20, s[40:41], -1, v37
	v_and_b32_e32 v38, 1, v4
	v_lshlrev_b32_e32 v1, 2, v3
	v_lshlrev_b32_e32 v3, 2, v4
	v_cmp_gt_i64_e64 s[0:1], 0, v[5:6]
	v_not_b32_e32 v4, v6
	v_cmp_gt_i64_e64 s[2:3], 0, v[7:8]
	v_not_b32_e32 v5, v8
	v_cmp_gt_i64_e64 s[4:5], 0, v[9:10]
	v_not_b32_e32 v6, v10
	v_not_b32_e32 v7, v12
	v_cmp_gt_i64_e64 s[8:9], 0, v[13:14]
	v_not_b32_e32 v8, v14
	v_cmp_gt_i64_e64 s[10:11], 0, v[15:16]
	;; [unrolled: 2-line block ×4, first 2 shown]
	v_not_b32_e32 v12, v22
	v_not_b32_e32 v13, v24
	;; [unrolled: 1-line block ×8, first 2 shown]
	v_addc_co_u32_e64 v21, s[40:41], 0, -1, s[40:41]
	v_cmp_gt_i64_e64 s[18:19], 0, v[23:24]
	v_cmp_gt_i64_e64 s[20:21], 0, v[25:26]
	;; [unrolled: 1-line block ×7, first 2 shown]
	v_ashrrev_i32_e32 v4, 31, v4
	v_ashrrev_i32_e32 v5, 31, v5
	;; [unrolled: 1-line block ×16, first 2 shown]
	v_add_co_u32_e64 v31, s[40:41], -1, v38
	v_cmp_eq_u32_e64 s[34:35], 1, v37
	v_cmp_eq_u32_e64 s[36:37], 1, v38
	v_mov_b32_e32 v22, v4
	v_mov_b32_e32 v24, v5
	;; [unrolled: 1-line block ×8, first 2 shown]
	v_addc_co_u32_e64 v32, s[40:41], 0, -1, s[40:41]
	v_mov_b32_e32 v33, v12
	v_mov_b32_e32 v34, v13
	;; [unrolled: 1-line block ×8, first 2 shown]
	v_lshlrev_b32_e32 v23, 2, v0
	s_branch .LBB13_2
.LBB13_1:                               ;   in Loop: Header=BB13_2 Depth=1
	s_or_b64 exec, exec, s[44:45]
	s_add_i32 s7, s7, -1
	s_cmp_eq_u32 s7, 0
	s_waitcnt lgkmcnt(0)
	s_barrier
	s_cbranch_scc1 .LBB13_8
.LBB13_2:                               ; =>This Inner Loop Header: Depth=1
	s_and_saveexec_b64 s[40:41], vcc
; %bb.3:                                ;   in Loop: Header=BB13_2 Depth=1
	ds_write_b32 v23, v2
; %bb.4:                                ;   in Loop: Header=BB13_2 Depth=1
	s_or_b64 exec, exec, s[40:41]
	v_cndmask_b32_e64 v41, 0, 1, s[34:35]
	v_cmp_ne_u32_e64 s[40:41], 0, v41
	v_cndmask_b32_e64 v43, 0, 1, s[0:1]
	v_xor_b32_e32 v41, s41, v21
	v_xor_b32_e32 v42, s40, v20
	v_cmp_ne_u32_e64 s[40:41], 0, v43
	v_and_b32_e32 v41, exec_hi, v41
	v_xor_b32_e32 v43, s41, v22
	v_and_b32_e32 v41, v41, v43
	v_cndmask_b32_e64 v43, 0, 1, s[2:3]
	v_xor_b32_e32 v44, s40, v4
	v_cmp_ne_u32_e64 s[40:41], 0, v43
	v_xor_b32_e32 v43, s41, v24
	v_and_b32_e32 v42, exec_lo, v42
	v_and_b32_e32 v41, v41, v43
	v_cndmask_b32_e64 v43, 0, 1, s[4:5]
	v_and_b32_e32 v42, v42, v44
	v_xor_b32_e32 v44, s40, v5
	v_cmp_ne_u32_e64 s[40:41], 0, v43
	v_xor_b32_e32 v43, s41, v25
	v_and_b32_e32 v41, v41, v43
	v_cndmask_b32_e64 v43, 0, 1, s[38:39]
	v_and_b32_e32 v42, v42, v44
	v_xor_b32_e32 v44, s40, v6
	v_cmp_ne_u32_e64 s[40:41], 0, v43
	v_xor_b32_e32 v43, s41, v26
	;; [unrolled: 6-line block ×5, first 2 shown]
	v_and_b32_e32 v41, v41, v43
	v_cndmask_b32_e64 v43, 0, 1, s[14:15]
	v_and_b32_e32 v42, v42, v44
	v_xor_b32_e32 v44, s40, v10
	v_cmp_ne_u32_e64 s[40:41], 0, v43
	v_and_b32_e32 v42, v42, v44
	v_xor_b32_e32 v44, s40, v11
	v_xor_b32_e32 v43, s41, v30
	v_and_b32_e32 v42, v42, v44
	v_and_b32_e32 v41, v41, v43
	v_mbcnt_lo_u32_b32 v43, v42, 0
	v_mbcnt_hi_u32_b32 v43, v41, v43
	v_cmp_eq_u32_e64 s[40:41], 0, v43
	s_waitcnt lgkmcnt(0)
	s_barrier
	s_and_saveexec_b64 s[44:45], s[40:41]
; %bb.5:                                ;   in Loop: Header=BB13_2 Depth=1
	v_bcnt_u32_b32 v42, v42, 0
	v_bcnt_u32_b32 v41, v41, v42
	ds_add_u32 v1, v41
; %bb.6:                                ;   in Loop: Header=BB13_2 Depth=1
	s_or_b64 exec, exec, s[44:45]
	v_cndmask_b32_e64 v41, 0, 1, s[36:37]
	v_cmp_ne_u32_e64 s[40:41], 0, v41
	v_cndmask_b32_e64 v43, 0, 1, s[16:17]
	v_xor_b32_e32 v41, s41, v32
	v_xor_b32_e32 v42, s40, v31
	v_cmp_ne_u32_e64 s[40:41], 0, v43
	v_and_b32_e32 v41, exec_hi, v41
	v_xor_b32_e32 v43, s41, v33
	v_and_b32_e32 v41, v41, v43
	v_cndmask_b32_e64 v43, 0, 1, s[18:19]
	v_xor_b32_e32 v44, s40, v12
	v_cmp_ne_u32_e64 s[40:41], 0, v43
	v_xor_b32_e32 v43, s41, v34
	v_and_b32_e32 v42, exec_lo, v42
	v_and_b32_e32 v41, v41, v43
	v_cndmask_b32_e64 v43, 0, 1, s[20:21]
	v_and_b32_e32 v42, v42, v44
	v_xor_b32_e32 v44, s40, v13
	v_cmp_ne_u32_e64 s[40:41], 0, v43
	v_xor_b32_e32 v43, s41, v35
	v_and_b32_e32 v41, v41, v43
	v_cndmask_b32_e64 v43, 0, 1, s[22:23]
	v_and_b32_e32 v42, v42, v44
	v_xor_b32_e32 v44, s40, v14
	v_cmp_ne_u32_e64 s[40:41], 0, v43
	v_xor_b32_e32 v43, s41, v36
	;; [unrolled: 6-line block ×5, first 2 shown]
	v_and_b32_e32 v41, v41, v43
	v_cndmask_b32_e64 v43, 0, 1, s[30:31]
	v_and_b32_e32 v42, v42, v44
	v_xor_b32_e32 v44, s40, v18
	v_cmp_ne_u32_e64 s[40:41], 0, v43
	v_and_b32_e32 v42, v42, v44
	v_xor_b32_e32 v44, s40, v19
	v_xor_b32_e32 v43, s41, v40
	v_and_b32_e32 v42, v42, v44
	v_and_b32_e32 v41, v41, v43
	v_mbcnt_lo_u32_b32 v43, v42, 0
	v_mbcnt_hi_u32_b32 v43, v41, v43
	v_cmp_eq_u32_e64 s[40:41], 0, v43
	s_and_saveexec_b64 s[44:45], s[40:41]
	s_cbranch_execz .LBB13_1
; %bb.7:                                ;   in Loop: Header=BB13_2 Depth=1
	v_bcnt_u32_b32 v42, v42, 0
	v_bcnt_u32_b32 v41, v41, v42
	ds_add_u32 v3, v41
	s_branch .LBB13_1
.LBB13_8:
	s_and_saveexec_b64 s[0:1], vcc
	s_cbranch_execz .LBB13_10
; %bb.9:
	v_lshl_or_b32 v0, s6, 9, v0
	v_mov_b32_e32 v1, 0
	ds_read_b32 v3, v23
	v_lshlrev_b64 v[0:1], 2, v[0:1]
	v_mov_b32_e32 v2, s43
	v_add_co_u32_e32 v0, vcc, s42, v0
	v_addc_co_u32_e32 v1, vcc, v2, v1, vcc
	s_waitcnt lgkmcnt(0)
	global_store_dword v[0:1], v3, off
.LBB13_10:
	s_endpgm
	.section	.rodata,"a",@progbits
	.p2align	6, 0x0
	.amdhsa_kernel _Z6kernelI9histogramILN6hipcub23BlockHistogramAlgorithmE0EEiLj512ELj2ELj512ELj100EEvPKT0_PS4_
		.amdhsa_group_segment_fixed_size 2048
		.amdhsa_private_segment_fixed_size 0
		.amdhsa_kernarg_size 16
		.amdhsa_user_sgpr_count 6
		.amdhsa_user_sgpr_private_segment_buffer 1
		.amdhsa_user_sgpr_dispatch_ptr 0
		.amdhsa_user_sgpr_queue_ptr 0
		.amdhsa_user_sgpr_kernarg_segment_ptr 1
		.amdhsa_user_sgpr_dispatch_id 0
		.amdhsa_user_sgpr_flat_scratch_init 0
		.amdhsa_user_sgpr_private_segment_size 0
		.amdhsa_uses_dynamic_stack 0
		.amdhsa_system_sgpr_private_segment_wavefront_offset 0
		.amdhsa_system_sgpr_workgroup_id_x 1
		.amdhsa_system_sgpr_workgroup_id_y 0
		.amdhsa_system_sgpr_workgroup_id_z 0
		.amdhsa_system_sgpr_workgroup_info 0
		.amdhsa_system_vgpr_workitem_id 0
		.amdhsa_next_free_vgpr 45
		.amdhsa_next_free_sgpr 46
		.amdhsa_reserve_vcc 1
		.amdhsa_reserve_flat_scratch 0
		.amdhsa_float_round_mode_32 0
		.amdhsa_float_round_mode_16_64 0
		.amdhsa_float_denorm_mode_32 3
		.amdhsa_float_denorm_mode_16_64 3
		.amdhsa_dx10_clamp 1
		.amdhsa_ieee_mode 1
		.amdhsa_fp16_overflow 0
		.amdhsa_exception_fp_ieee_invalid_op 0
		.amdhsa_exception_fp_denorm_src 0
		.amdhsa_exception_fp_ieee_div_zero 0
		.amdhsa_exception_fp_ieee_overflow 0
		.amdhsa_exception_fp_ieee_underflow 0
		.amdhsa_exception_fp_ieee_inexact 0
		.amdhsa_exception_int_div_zero 0
	.end_amdhsa_kernel
	.section	.text._Z6kernelI9histogramILN6hipcub23BlockHistogramAlgorithmE0EEiLj512ELj2ELj512ELj100EEvPKT0_PS4_,"axG",@progbits,_Z6kernelI9histogramILN6hipcub23BlockHistogramAlgorithmE0EEiLj512ELj2ELj512ELj100EEvPKT0_PS4_,comdat
.Lfunc_end13:
	.size	_Z6kernelI9histogramILN6hipcub23BlockHistogramAlgorithmE0EEiLj512ELj2ELj512ELj100EEvPKT0_PS4_, .Lfunc_end13-_Z6kernelI9histogramILN6hipcub23BlockHistogramAlgorithmE0EEiLj512ELj2ELj512ELj100EEvPKT0_PS4_
                                        ; -- End function
	.set _Z6kernelI9histogramILN6hipcub23BlockHistogramAlgorithmE0EEiLj512ELj2ELj512ELj100EEvPKT0_PS4_.num_vgpr, 45
	.set _Z6kernelI9histogramILN6hipcub23BlockHistogramAlgorithmE0EEiLj512ELj2ELj512ELj100EEvPKT0_PS4_.num_agpr, 0
	.set _Z6kernelI9histogramILN6hipcub23BlockHistogramAlgorithmE0EEiLj512ELj2ELj512ELj100EEvPKT0_PS4_.numbered_sgpr, 46
	.set _Z6kernelI9histogramILN6hipcub23BlockHistogramAlgorithmE0EEiLj512ELj2ELj512ELj100EEvPKT0_PS4_.num_named_barrier, 0
	.set _Z6kernelI9histogramILN6hipcub23BlockHistogramAlgorithmE0EEiLj512ELj2ELj512ELj100EEvPKT0_PS4_.private_seg_size, 0
	.set _Z6kernelI9histogramILN6hipcub23BlockHistogramAlgorithmE0EEiLj512ELj2ELj512ELj100EEvPKT0_PS4_.uses_vcc, 1
	.set _Z6kernelI9histogramILN6hipcub23BlockHistogramAlgorithmE0EEiLj512ELj2ELj512ELj100EEvPKT0_PS4_.uses_flat_scratch, 0
	.set _Z6kernelI9histogramILN6hipcub23BlockHistogramAlgorithmE0EEiLj512ELj2ELj512ELj100EEvPKT0_PS4_.has_dyn_sized_stack, 0
	.set _Z6kernelI9histogramILN6hipcub23BlockHistogramAlgorithmE0EEiLj512ELj2ELj512ELj100EEvPKT0_PS4_.has_recursion, 0
	.set _Z6kernelI9histogramILN6hipcub23BlockHistogramAlgorithmE0EEiLj512ELj2ELj512ELj100EEvPKT0_PS4_.has_indirect_call, 0
	.section	.AMDGPU.csdata,"",@progbits
; Kernel info:
; codeLenInByte = 1396
; TotalNumSgprs: 50
; NumVgprs: 45
; ScratchSize: 0
; MemoryBound: 0
; FloatMode: 240
; IeeeMode: 1
; LDSByteSize: 2048 bytes/workgroup (compile time only)
; SGPRBlocks: 6
; VGPRBlocks: 11
; NumSGPRsForWavesPerEU: 50
; NumVGPRsForWavesPerEU: 45
; Occupancy: 5
; WaveLimiterHint : 0
; COMPUTE_PGM_RSRC2:SCRATCH_EN: 0
; COMPUTE_PGM_RSRC2:USER_SGPR: 6
; COMPUTE_PGM_RSRC2:TRAP_HANDLER: 0
; COMPUTE_PGM_RSRC2:TGID_X_EN: 1
; COMPUTE_PGM_RSRC2:TGID_Y_EN: 0
; COMPUTE_PGM_RSRC2:TGID_Z_EN: 0
; COMPUTE_PGM_RSRC2:TIDIG_COMP_CNT: 0
	.section	.text._Z6kernelI9histogramILN6hipcub23BlockHistogramAlgorithmE0EEiLj512ELj3ELj512ELj100EEvPKT0_PS4_,"axG",@progbits,_Z6kernelI9histogramILN6hipcub23BlockHistogramAlgorithmE0EEiLj512ELj3ELj512ELj100EEvPKT0_PS4_,comdat
	.protected	_Z6kernelI9histogramILN6hipcub23BlockHistogramAlgorithmE0EEiLj512ELj3ELj512ELj100EEvPKT0_PS4_ ; -- Begin function _Z6kernelI9histogramILN6hipcub23BlockHistogramAlgorithmE0EEiLj512ELj3ELj512ELj100EEvPKT0_PS4_
	.globl	_Z6kernelI9histogramILN6hipcub23BlockHistogramAlgorithmE0EEiLj512ELj3ELj512ELj100EEvPKT0_PS4_
	.p2align	8
	.type	_Z6kernelI9histogramILN6hipcub23BlockHistogramAlgorithmE0EEiLj512ELj3ELj512ELj100EEvPKT0_PS4_,@function
_Z6kernelI9histogramILN6hipcub23BlockHistogramAlgorithmE0EEiLj512ELj3ELj512ELj100EEvPKT0_PS4_: ; @_Z6kernelI9histogramILN6hipcub23BlockHistogramAlgorithmE0EEiLj512ELj3ELj512ELj100EEvPKT0_PS4_
; %bb.0:
	s_load_dwordx4 s[56:59], s[4:5], 0x0
	s_lshl_b32 s0, s6, 9
	v_or_b32_e32 v1, s0, v0
	v_lshl_add_u32 v2, v1, 1, v1
	v_mov_b32_e32 v3, 0
	v_lshlrev_b64 v[4:5], 2, v[2:3]
	s_waitcnt lgkmcnt(0)
	v_mov_b32_e32 v6, s57
	v_add_co_u32_e32 v4, vcc, s56, v4
	v_addc_co_u32_e32 v5, vcc, v6, v5, vcc
	global_load_dword v4, v[4:5], off
	v_mov_b32_e32 v6, v3
	v_add_u32_e32 v5, 1, v2
	v_lshlrev_b64 v[5:6], 2, v[5:6]
	v_mov_b32_e32 v7, s57
	v_add_co_u32_e32 v5, vcc, s56, v5
	v_addc_co_u32_e32 v6, vcc, v7, v6, vcc
	v_add_u32_e32 v2, 2, v2
	global_load_dword v5, v[5:6], off
	v_lshlrev_b64 v[6:7], 2, v[2:3]
	v_mov_b32_e32 v2, s57
	v_add_co_u32_e32 v6, vcc, s56, v6
	v_addc_co_u32_e32 v7, vcc, v2, v7, vcc
	global_load_dword v2, v[6:7], off
	v_mov_b32_e32 v6, v3
	v_mov_b32_e32 v22, v3
	;; [unrolled: 1-line block ×15, first 2 shown]
	s_movk_i32 s33, 0x200
	v_cmp_gt_u32_e64 s[48:49], s33, v0
	v_lshlrev_b32_e32 v0, 2, v0
	s_movk_i32 s33, 0x64
	s_waitcnt vmcnt(2)
	v_lshlrev_b32_e32 v7, 30, v4
	v_cmp_gt_i64_e32 vcc, 0, v[6:7]
	v_not_b32_e32 v36, v7
	v_lshlrev_b32_e32 v9, 29, v4
	v_lshlrev_b32_e32 v11, 28, v4
	;; [unrolled: 1-line block ×3, first 2 shown]
	v_cmp_gt_i64_e64 s[0:1], 0, v[8:9]
	v_not_b32_e32 v8, v9
	v_cmp_gt_i64_e64 s[2:3], 0, v[10:11]
	v_not_b32_e32 v9, v11
	s_waitcnt vmcnt(1)
	v_lshlrev_b32_e32 v23, 30, v5
	v_lshlrev_b32_e32 v7, 23, v5
	v_cmp_gt_i64_e64 s[14:15], 0, v[22:23]
	v_cmp_gt_i64_e64 s[28:29], 0, v[6:7]
	v_not_b32_e32 v22, v7
	v_lshlrev_b32_e32 v25, 29, v5
	v_cmp_gt_i64_e64 s[6:7], 0, v[14:15]
	s_waitcnt vmcnt(0)
	v_lshlrev_b32_e32 v7, 30, v2
	v_not_b32_e32 v11, v15
	v_not_b32_e32 v15, v23
	v_cmp_gt_i64_e64 s[30:31], 0, v[6:7]
	v_not_b32_e32 v23, v7
	v_lshlrev_b32_e32 v7, 29, v2
	v_lshlrev_b32_e32 v17, 25, v4
	v_cmp_gt_i64_e64 s[16:17], 0, v[24:25]
	v_cmp_gt_i64_e64 s[34:35], 0, v[6:7]
	v_not_b32_e32 v24, v7
	v_lshlrev_b32_e32 v7, 28, v2
	v_lshlrev_b32_e32 v27, 28, v5
	v_cmp_gt_i64_e64 s[8:9], 0, v[16:17]
	v_not_b32_e32 v16, v25
	v_cmp_gt_i64_e64 s[36:37], 0, v[6:7]
	v_not_b32_e32 v25, v7
	v_lshlrev_b32_e32 v7, 27, v2
	v_lshlrev_b32_e32 v13, 27, v4
	v_cmp_gt_i64_e64 s[18:19], 0, v[26:27]
	v_cmp_gt_i64_e64 s[38:39], 0, v[6:7]
	v_not_b32_e32 v26, v7
	v_lshlrev_b32_e32 v7, 26, v2
	v_lshlrev_b32_e32 v29, 27, v5
	v_cmp_gt_i64_e64 s[4:5], 0, v[12:13]
	v_not_b32_e32 v12, v17
	v_not_b32_e32 v17, v27
	v_cmp_gt_i64_e64 s[40:41], 0, v[6:7]
	v_not_b32_e32 v27, v7
	v_lshlrev_b32_e32 v7, 25, v2
	v_lshlrev_b32_e32 v19, 24, v4
	v_cmp_gt_i64_e64 s[20:21], 0, v[28:29]
	v_cmp_gt_i64_e64 s[42:43], 0, v[6:7]
	v_not_b32_e32 v28, v7
	v_lshlrev_b32_e32 v7, 24, v2
	v_lshlrev_b32_e32 v21, 23, v4
	;; [unrolled: 1-line block ×5, first 2 shown]
	v_cmp_gt_i64_e64 s[10:11], 0, v[18:19]
	v_not_b32_e32 v18, v29
	v_cmp_gt_i64_e64 s[44:45], 0, v[6:7]
	v_not_b32_e32 v29, v7
	v_lshlrev_b32_e32 v7, 23, v2
	v_not_b32_e32 v10, v13
	v_not_b32_e32 v13, v19
	v_cmp_gt_i64_e64 s[12:13], 0, v[20:21]
	v_not_b32_e32 v14, v21
	v_cmp_gt_i64_e64 s[22:23], 0, v[30:31]
	v_not_b32_e32 v19, v31
	v_not_b32_e32 v20, v33
	;; [unrolled: 1-line block ×4, first 2 shown]
	v_and_b32_e32 v31, 1, v4
	v_cmp_gt_i64_e64 s[46:47], 0, v[6:7]
	v_ashrrev_i32_e32 v7, 31, v8
	v_ashrrev_i32_e32 v8, 31, v9
	;; [unrolled: 1-line block ×23, first 2 shown]
	v_add_co_u32_e64 v30, s[56:57], -1, v31
	v_cmp_eq_u32_e64 s[50:51], 1, v31
	v_and_b32_e32 v40, 1, v5
	v_addc_co_u32_e64 v31, s[56:57], 0, -1, s[56:57]
	v_cmp_eq_u32_e64 s[52:53], 1, v40
	v_add_co_u32_e64 v40, s[56:57], -1, v40
	v_and_b32_e32 v50, 1, v2
	v_addc_co_u32_e64 v41, s[56:57], 0, -1, s[56:57]
	v_cmp_gt_i64_e64 s[24:25], 0, v[32:33]
	v_cmp_gt_i64_e64 s[26:27], 0, v[34:35]
	v_ashrrev_i32_e32 v6, 31, v36
	v_cmp_eq_u32_e64 s[54:55], 1, v50
	v_add_co_u32_e64 v50, s[56:57], -1, v50
	v_lshlrev_b32_e32 v4, 2, v4
	v_lshlrev_b32_e32 v5, 2, v5
	v_lshlrev_b32_e32 v2, 2, v2
	v_mov_b32_e32 v32, v6
	v_mov_b32_e32 v33, v7
	;; [unrolled: 1-line block ×16, first 2 shown]
	v_addc_co_u32_e64 v51, s[56:57], 0, -1, s[56:57]
	v_mov_b32_e32 v52, v22
	v_mov_b32_e32 v53, v23
	;; [unrolled: 1-line block ×8, first 2 shown]
	s_branch .LBB14_2
.LBB14_1:                               ;   in Loop: Header=BB14_2 Depth=1
	s_or_b64 exec, exec, s[60:61]
	s_add_i32 s33, s33, -1
	s_cmp_eq_u32 s33, 0
	s_waitcnt lgkmcnt(0)
	s_barrier
	s_cbranch_scc1 .LBB14_10
.LBB14_2:                               ; =>This Inner Loop Header: Depth=1
	s_and_saveexec_b64 s[56:57], s[48:49]
; %bb.3:                                ;   in Loop: Header=BB14_2 Depth=1
	ds_write_b32 v0, v3
; %bb.4:                                ;   in Loop: Header=BB14_2 Depth=1
	s_or_b64 exec, exec, s[56:57]
	v_cndmask_b32_e64 v60, 0, 1, s[50:51]
	v_cmp_ne_u32_e64 s[56:57], 0, v60
	v_cndmask_b32_e64 v62, 0, 1, vcc
	v_xor_b32_e32 v60, s57, v31
	v_xor_b32_e32 v61, s56, v30
	v_cmp_ne_u32_e64 s[56:57], 0, v62
	v_and_b32_e32 v60, exec_hi, v60
	v_xor_b32_e32 v62, s57, v32
	v_and_b32_e32 v60, v60, v62
	v_cndmask_b32_e64 v62, 0, 1, s[0:1]
	v_xor_b32_e32 v63, s56, v6
	v_cmp_ne_u32_e64 s[56:57], 0, v62
	v_xor_b32_e32 v62, s57, v33
	v_and_b32_e32 v61, exec_lo, v61
	v_and_b32_e32 v60, v60, v62
	v_cndmask_b32_e64 v62, 0, 1, s[2:3]
	v_and_b32_e32 v61, v61, v63
	v_xor_b32_e32 v63, s56, v7
	v_cmp_ne_u32_e64 s[56:57], 0, v62
	v_xor_b32_e32 v62, s57, v34
	v_and_b32_e32 v60, v60, v62
	v_cndmask_b32_e64 v62, 0, 1, s[4:5]
	v_and_b32_e32 v61, v61, v63
	v_xor_b32_e32 v63, s56, v8
	v_cmp_ne_u32_e64 s[56:57], 0, v62
	v_xor_b32_e32 v62, s57, v35
	;; [unrolled: 6-line block ×5, first 2 shown]
	v_and_b32_e32 v60, v60, v62
	v_cndmask_b32_e64 v62, 0, 1, s[12:13]
	v_and_b32_e32 v61, v61, v63
	v_xor_b32_e32 v63, s56, v12
	v_cmp_ne_u32_e64 s[56:57], 0, v62
	v_and_b32_e32 v61, v61, v63
	v_xor_b32_e32 v63, s56, v13
	v_xor_b32_e32 v62, s57, v39
	v_and_b32_e32 v61, v61, v63
	v_and_b32_e32 v60, v60, v62
	v_mbcnt_lo_u32_b32 v62, v61, 0
	v_mbcnt_hi_u32_b32 v62, v60, v62
	v_cmp_eq_u32_e64 s[56:57], 0, v62
	s_waitcnt lgkmcnt(0)
	s_barrier
	s_and_saveexec_b64 s[60:61], s[56:57]
; %bb.5:                                ;   in Loop: Header=BB14_2 Depth=1
	v_bcnt_u32_b32 v61, v61, 0
	v_bcnt_u32_b32 v60, v60, v61
	ds_add_u32 v4, v60
; %bb.6:                                ;   in Loop: Header=BB14_2 Depth=1
	s_or_b64 exec, exec, s[60:61]
	v_cndmask_b32_e64 v60, 0, 1, s[52:53]
	v_cmp_ne_u32_e64 s[56:57], 0, v60
	v_cndmask_b32_e64 v62, 0, 1, s[14:15]
	v_xor_b32_e32 v60, s57, v41
	v_xor_b32_e32 v61, s56, v40
	v_cmp_ne_u32_e64 s[56:57], 0, v62
	v_and_b32_e32 v60, exec_hi, v60
	v_xor_b32_e32 v62, s57, v42
	v_and_b32_e32 v60, v60, v62
	v_cndmask_b32_e64 v62, 0, 1, s[16:17]
	v_xor_b32_e32 v63, s56, v14
	v_cmp_ne_u32_e64 s[56:57], 0, v62
	v_xor_b32_e32 v62, s57, v43
	v_and_b32_e32 v61, exec_lo, v61
	v_and_b32_e32 v60, v60, v62
	v_cndmask_b32_e64 v62, 0, 1, s[18:19]
	v_and_b32_e32 v61, v61, v63
	v_xor_b32_e32 v63, s56, v15
	v_cmp_ne_u32_e64 s[56:57], 0, v62
	v_xor_b32_e32 v62, s57, v44
	v_and_b32_e32 v60, v60, v62
	v_cndmask_b32_e64 v62, 0, 1, s[20:21]
	v_and_b32_e32 v61, v61, v63
	v_xor_b32_e32 v63, s56, v16
	v_cmp_ne_u32_e64 s[56:57], 0, v62
	v_xor_b32_e32 v62, s57, v45
	;; [unrolled: 6-line block ×5, first 2 shown]
	v_and_b32_e32 v60, v60, v62
	v_cndmask_b32_e64 v62, 0, 1, s[28:29]
	v_and_b32_e32 v61, v61, v63
	v_xor_b32_e32 v63, s56, v20
	v_cmp_ne_u32_e64 s[56:57], 0, v62
	v_and_b32_e32 v61, v61, v63
	v_xor_b32_e32 v63, s56, v21
	v_xor_b32_e32 v62, s57, v49
	v_and_b32_e32 v61, v61, v63
	v_and_b32_e32 v60, v60, v62
	v_mbcnt_lo_u32_b32 v62, v61, 0
	v_mbcnt_hi_u32_b32 v62, v60, v62
	v_cmp_eq_u32_e64 s[56:57], 0, v62
	s_and_saveexec_b64 s[60:61], s[56:57]
; %bb.7:                                ;   in Loop: Header=BB14_2 Depth=1
	v_bcnt_u32_b32 v61, v61, 0
	v_bcnt_u32_b32 v60, v60, v61
	ds_add_u32 v5, v60
; %bb.8:                                ;   in Loop: Header=BB14_2 Depth=1
	s_or_b64 exec, exec, s[60:61]
	v_cndmask_b32_e64 v60, 0, 1, s[54:55]
	v_cmp_ne_u32_e64 s[56:57], 0, v60
	v_cndmask_b32_e64 v62, 0, 1, s[30:31]
	v_xor_b32_e32 v60, s57, v51
	v_xor_b32_e32 v61, s56, v50
	v_cmp_ne_u32_e64 s[56:57], 0, v62
	v_and_b32_e32 v60, exec_hi, v60
	v_xor_b32_e32 v62, s57, v52
	v_and_b32_e32 v60, v60, v62
	v_cndmask_b32_e64 v62, 0, 1, s[34:35]
	v_xor_b32_e32 v63, s56, v22
	v_cmp_ne_u32_e64 s[56:57], 0, v62
	v_xor_b32_e32 v62, s57, v53
	v_and_b32_e32 v61, exec_lo, v61
	v_and_b32_e32 v60, v60, v62
	v_cndmask_b32_e64 v62, 0, 1, s[36:37]
	v_and_b32_e32 v61, v61, v63
	v_xor_b32_e32 v63, s56, v23
	v_cmp_ne_u32_e64 s[56:57], 0, v62
	v_xor_b32_e32 v62, s57, v54
	v_and_b32_e32 v60, v60, v62
	v_cndmask_b32_e64 v62, 0, 1, s[38:39]
	v_and_b32_e32 v61, v61, v63
	v_xor_b32_e32 v63, s56, v24
	v_cmp_ne_u32_e64 s[56:57], 0, v62
	v_xor_b32_e32 v62, s57, v55
	;; [unrolled: 6-line block ×5, first 2 shown]
	v_and_b32_e32 v60, v60, v62
	v_cndmask_b32_e64 v62, 0, 1, s[46:47]
	v_and_b32_e32 v61, v61, v63
	v_xor_b32_e32 v63, s56, v28
	v_cmp_ne_u32_e64 s[56:57], 0, v62
	v_and_b32_e32 v61, v61, v63
	v_xor_b32_e32 v63, s56, v29
	v_xor_b32_e32 v62, s57, v59
	v_and_b32_e32 v61, v61, v63
	v_and_b32_e32 v60, v60, v62
	v_mbcnt_lo_u32_b32 v62, v61, 0
	v_mbcnt_hi_u32_b32 v62, v60, v62
	v_cmp_eq_u32_e64 s[56:57], 0, v62
	s_and_saveexec_b64 s[60:61], s[56:57]
	s_cbranch_execz .LBB14_1
; %bb.9:                                ;   in Loop: Header=BB14_2 Depth=1
	v_bcnt_u32_b32 v61, v61, 0
	v_bcnt_u32_b32 v60, v60, v61
	ds_add_u32 v2, v60
	s_branch .LBB14_1
.LBB14_10:
	s_and_saveexec_b64 s[0:1], s[48:49]
	s_cbranch_execz .LBB14_12
; %bb.11:
	v_mov_b32_e32 v2, 0
	ds_read_b32 v4, v0
	v_lshlrev_b64 v[1:2], 2, v[1:2]
	v_mov_b32_e32 v3, s59
	v_add_co_u32_e32 v0, vcc, s58, v1
	v_addc_co_u32_e32 v1, vcc, v3, v2, vcc
	s_waitcnt lgkmcnt(0)
	global_store_dword v[0:1], v4, off
.LBB14_12:
	s_endpgm
	.section	.rodata,"a",@progbits
	.p2align	6, 0x0
	.amdhsa_kernel _Z6kernelI9histogramILN6hipcub23BlockHistogramAlgorithmE0EEiLj512ELj3ELj512ELj100EEvPKT0_PS4_
		.amdhsa_group_segment_fixed_size 2048
		.amdhsa_private_segment_fixed_size 0
		.amdhsa_kernarg_size 16
		.amdhsa_user_sgpr_count 6
		.amdhsa_user_sgpr_private_segment_buffer 1
		.amdhsa_user_sgpr_dispatch_ptr 0
		.amdhsa_user_sgpr_queue_ptr 0
		.amdhsa_user_sgpr_kernarg_segment_ptr 1
		.amdhsa_user_sgpr_dispatch_id 0
		.amdhsa_user_sgpr_flat_scratch_init 0
		.amdhsa_user_sgpr_private_segment_size 0
		.amdhsa_uses_dynamic_stack 0
		.amdhsa_system_sgpr_private_segment_wavefront_offset 0
		.amdhsa_system_sgpr_workgroup_id_x 1
		.amdhsa_system_sgpr_workgroup_id_y 0
		.amdhsa_system_sgpr_workgroup_id_z 0
		.amdhsa_system_sgpr_workgroup_info 0
		.amdhsa_system_vgpr_workitem_id 0
		.amdhsa_next_free_vgpr 64
		.amdhsa_next_free_sgpr 62
		.amdhsa_reserve_vcc 1
		.amdhsa_reserve_flat_scratch 0
		.amdhsa_float_round_mode_32 0
		.amdhsa_float_round_mode_16_64 0
		.amdhsa_float_denorm_mode_32 3
		.amdhsa_float_denorm_mode_16_64 3
		.amdhsa_dx10_clamp 1
		.amdhsa_ieee_mode 1
		.amdhsa_fp16_overflow 0
		.amdhsa_exception_fp_ieee_invalid_op 0
		.amdhsa_exception_fp_denorm_src 0
		.amdhsa_exception_fp_ieee_div_zero 0
		.amdhsa_exception_fp_ieee_overflow 0
		.amdhsa_exception_fp_ieee_underflow 0
		.amdhsa_exception_fp_ieee_inexact 0
		.amdhsa_exception_int_div_zero 0
	.end_amdhsa_kernel
	.section	.text._Z6kernelI9histogramILN6hipcub23BlockHistogramAlgorithmE0EEiLj512ELj3ELj512ELj100EEvPKT0_PS4_,"axG",@progbits,_Z6kernelI9histogramILN6hipcub23BlockHistogramAlgorithmE0EEiLj512ELj3ELj512ELj100EEvPKT0_PS4_,comdat
.Lfunc_end14:
	.size	_Z6kernelI9histogramILN6hipcub23BlockHistogramAlgorithmE0EEiLj512ELj3ELj512ELj100EEvPKT0_PS4_, .Lfunc_end14-_Z6kernelI9histogramILN6hipcub23BlockHistogramAlgorithmE0EEiLj512ELj3ELj512ELj100EEvPKT0_PS4_
                                        ; -- End function
	.set _Z6kernelI9histogramILN6hipcub23BlockHistogramAlgorithmE0EEiLj512ELj3ELj512ELj100EEvPKT0_PS4_.num_vgpr, 64
	.set _Z6kernelI9histogramILN6hipcub23BlockHistogramAlgorithmE0EEiLj512ELj3ELj512ELj100EEvPKT0_PS4_.num_agpr, 0
	.set _Z6kernelI9histogramILN6hipcub23BlockHistogramAlgorithmE0EEiLj512ELj3ELj512ELj100EEvPKT0_PS4_.numbered_sgpr, 62
	.set _Z6kernelI9histogramILN6hipcub23BlockHistogramAlgorithmE0EEiLj512ELj3ELj512ELj100EEvPKT0_PS4_.num_named_barrier, 0
	.set _Z6kernelI9histogramILN6hipcub23BlockHistogramAlgorithmE0EEiLj512ELj3ELj512ELj100EEvPKT0_PS4_.private_seg_size, 0
	.set _Z6kernelI9histogramILN6hipcub23BlockHistogramAlgorithmE0EEiLj512ELj3ELj512ELj100EEvPKT0_PS4_.uses_vcc, 1
	.set _Z6kernelI9histogramILN6hipcub23BlockHistogramAlgorithmE0EEiLj512ELj3ELj512ELj100EEvPKT0_PS4_.uses_flat_scratch, 0
	.set _Z6kernelI9histogramILN6hipcub23BlockHistogramAlgorithmE0EEiLj512ELj3ELj512ELj100EEvPKT0_PS4_.has_dyn_sized_stack, 0
	.set _Z6kernelI9histogramILN6hipcub23BlockHistogramAlgorithmE0EEiLj512ELj3ELj512ELj100EEvPKT0_PS4_.has_recursion, 0
	.set _Z6kernelI9histogramILN6hipcub23BlockHistogramAlgorithmE0EEiLj512ELj3ELj512ELj100EEvPKT0_PS4_.has_indirect_call, 0
	.section	.AMDGPU.csdata,"",@progbits
; Kernel info:
; codeLenInByte = 2032
; TotalNumSgprs: 66
; NumVgprs: 64
; ScratchSize: 0
; MemoryBound: 0
; FloatMode: 240
; IeeeMode: 1
; LDSByteSize: 2048 bytes/workgroup (compile time only)
; SGPRBlocks: 8
; VGPRBlocks: 15
; NumSGPRsForWavesPerEU: 66
; NumVGPRsForWavesPerEU: 64
; Occupancy: 4
; WaveLimiterHint : 0
; COMPUTE_PGM_RSRC2:SCRATCH_EN: 0
; COMPUTE_PGM_RSRC2:USER_SGPR: 6
; COMPUTE_PGM_RSRC2:TRAP_HANDLER: 0
; COMPUTE_PGM_RSRC2:TGID_X_EN: 1
; COMPUTE_PGM_RSRC2:TGID_Y_EN: 0
; COMPUTE_PGM_RSRC2:TGID_Z_EN: 0
; COMPUTE_PGM_RSRC2:TIDIG_COMP_CNT: 0
	.section	.text._Z6kernelI9histogramILN6hipcub23BlockHistogramAlgorithmE0EEiLj512ELj4ELj512ELj100EEvPKT0_PS4_,"axG",@progbits,_Z6kernelI9histogramILN6hipcub23BlockHistogramAlgorithmE0EEiLj512ELj4ELj512ELj100EEvPKT0_PS4_,comdat
	.protected	_Z6kernelI9histogramILN6hipcub23BlockHistogramAlgorithmE0EEiLj512ELj4ELj512ELj100EEvPKT0_PS4_ ; -- Begin function _Z6kernelI9histogramILN6hipcub23BlockHistogramAlgorithmE0EEiLj512ELj4ELj512ELj100EEvPKT0_PS4_
	.globl	_Z6kernelI9histogramILN6hipcub23BlockHistogramAlgorithmE0EEiLj512ELj4ELj512ELj100EEvPKT0_PS4_
	.p2align	8
	.type	_Z6kernelI9histogramILN6hipcub23BlockHistogramAlgorithmE0EEiLj512ELj4ELj512ELj100EEvPKT0_PS4_,@function
_Z6kernelI9histogramILN6hipcub23BlockHistogramAlgorithmE0EEiLj512ELj4ELj512ELj100EEvPKT0_PS4_: ; @_Z6kernelI9histogramILN6hipcub23BlockHistogramAlgorithmE0EEiLj512ELj4ELj512ELj100EEvPKT0_PS4_
; %bb.0:
	s_load_dwordx4 s[76:79], s[4:5], 0x0
	v_lshlrev_b32_e32 v6, 2, v0
	v_lshl_or_b32 v4, s6, 11, v6
	v_mov_b32_e32 v5, 0
	v_lshlrev_b64 v[1:2], 2, v[4:5]
	s_waitcnt lgkmcnt(0)
	v_mov_b32_e32 v3, s77
	v_add_co_u32_e32 v1, vcc, s76, v1
	v_addc_co_u32_e32 v2, vcc, v3, v2, vcc
	global_load_dwordx4 v[1:4], v[1:2], off
	v_mov_b32_e32 v13, v5
	v_mov_b32_e32 v15, v5
	;; [unrolled: 1-line block ×12, first 2 shown]
	s_movk_i32 s7, 0x200
	v_cmp_gt_u32_e64 s[64:65], s7, v0
	s_movk_i32 s7, 0x64
	s_waitcnt vmcnt(0)
	v_lshlrev_b32_e32 v14, 29, v1
	v_lshlrev_b32_e32 v16, 28, v1
	;; [unrolled: 1-line block ×6, first 2 shown]
	v_cmp_gt_i64_e64 s[0:1], 0, v[13:14]
	v_cmp_gt_i64_e64 s[2:3], 0, v[15:16]
	v_not_b32_e32 v13, v16
	v_cmp_gt_i64_e64 s[8:9], 0, v[21:22]
	v_not_b32_e32 v16, v22
	;; [unrolled: 2-line block ×3, first 2 shown]
	v_mov_b32_e32 v34, v5
	v_lshlrev_b32_e32 v18, 27, v1
	v_lshlrev_b32_e32 v36, 25, v2
	v_cmp_gt_i64_e64 s[10:11], 0, v[23:24]
	v_cmp_gt_i64_e64 s[22:23], 0, v[34:35]
	v_not_b32_e32 v23, v35
	v_mov_b32_e32 v35, v5
	v_lshlrev_b32_e32 v26, 23, v1
	v_lshlrev_b32_e32 v37, 24, v2
	v_cmp_gt_i64_e64 s[4:5], 0, v[17:18]
	v_not_b32_e32 v17, v24
	v_cmp_gt_i64_e64 s[24:25], 0, v[35:36]
	v_not_b32_e32 v24, v36
	v_mov_b32_e32 v36, v5
	v_lshlrev_b32_e32 v28, 30, v2
	v_lshlrev_b32_e32 v38, 30, v3
	v_cmp_gt_i64_e64 s[12:13], 0, v[25:26]
	v_cmp_gt_i64_e64 s[26:27], 0, v[36:37]
	v_not_b32_e32 v25, v37
	v_mov_b32_e32 v37, v5
	v_lshlrev_b32_e32 v20, 26, v1
	v_lshlrev_b32_e32 v39, 29, v3
	v_cmp_gt_i64_e64 s[14:15], 0, v[27:28]
	;; [unrolled: 6-line block ×3, first 2 shown]
	v_not_b32_e32 v19, v28
	v_cmp_gt_i64_e64 s[34:35], 0, v[38:39]
	v_not_b32_e32 v28, v39
	v_mov_b32_e32 v39, v5
	v_lshlrev_b32_e32 v41, 27, v3
	v_cmp_gt_i64_e64 s[16:17], 0, v[29:30]
	v_cmp_gt_i64_e64 s[36:37], 0, v[39:40]
	v_not_b32_e32 v29, v40
	v_mov_b32_e32 v40, v5
	v_lshlrev_b32_e32 v32, 28, v2
	v_lshlrev_b32_e32 v42, 26, v3
	v_not_b32_e32 v15, v20
	v_not_b32_e32 v20, v30
	v_cmp_gt_i64_e64 s[38:39], 0, v[40:41]
	v_not_b32_e32 v30, v41
	v_mov_b32_e32 v41, v5
	v_lshlrev_b32_e32 v43, 25, v3
	v_cmp_gt_i64_e64 s[18:19], 0, v[31:32]
	v_cmp_gt_i64_e64 s[40:41], 0, v[41:42]
	v_not_b32_e32 v31, v42
	v_mov_b32_e32 v42, v5
	v_lshlrev_b32_e32 v44, 24, v3
	v_not_b32_e32 v21, v32
	v_cmp_gt_i64_e64 s[42:43], 0, v[42:43]
	v_not_b32_e32 v32, v43
	v_mov_b32_e32 v43, v5
	v_and_b32_e32 v52, 1, v1
	v_lshlrev_b32_e32 v12, 30, v1
	v_and_b32_e32 v53, 1, v2
	v_lshlrev_b32_e32 v7, 2, v1
	v_lshlrev_b32_e32 v8, 2, v2
	;; [unrolled: 1-line block ×4, first 2 shown]
	v_mov_b32_e32 v1, v5
	v_cmp_gt_i64_e64 s[44:45], 0, v[43:44]
	v_not_b32_e32 v33, v44
	v_mov_b32_e32 v44, v5
	v_and_b32_e32 v59, 1, v3
	v_lshlrev_b32_e32 v9, 2, v3
	v_lshlrev_b32_e32 v3, 23, v3
	;; [unrolled: 1-line block ×3, first 2 shown]
	v_cmp_gt_i64_e32 vcc, 0, v[11:12]
	v_not_b32_e32 v11, v12
	v_not_b32_e32 v12, v14
	;; [unrolled: 1-line block ×4, first 2 shown]
	v_cmp_gt_i64_e64 s[28:29], 0, v[1:2]
	v_not_b32_e32 v26, v2
	v_mov_b32_e32 v2, v5
	v_cmp_gt_i64_e64 s[48:49], 0, v[44:45]
	v_not_b32_e32 v35, v45
	v_mov_b32_e32 v45, v5
	v_and_b32_e32 v69, 1, v4
	v_lshlrev_b32_e32 v10, 2, v4
	v_lshlrev_b32_e32 v47, 28, v4
	;; [unrolled: 1-line block ×7, first 2 shown]
	v_cmp_gt_i64_e64 s[46:47], 0, v[2:3]
	v_not_b32_e32 v34, v3
	v_cmp_gt_i64_e64 s[50:51], 0, v[45:46]
	v_not_b32_e32 v36, v46
	v_mov_b32_e32 v46, v5
	v_mov_b32_e32 v3, v5
	v_cmp_gt_i64_e64 s[52:53], 0, v[46:47]
	v_not_b32_e32 v37, v47
	v_mov_b32_e32 v47, v5
	v_cmp_gt_i64_e64 s[62:63], 0, v[3:4]
	v_ashrrev_i32_e32 v3, 31, v13
	v_ashrrev_i32_e32 v13, 31, v17
	;; [unrolled: 1-line block ×6, first 2 shown]
	v_add_co_u32_e64 v33, s[76:77], -1, v53
	v_cmp_gt_i64_e64 s[54:55], 0, v[47:48]
	v_not_b32_e32 v38, v48
	v_mov_b32_e32 v48, v5
	v_not_b32_e32 v42, v4
	v_ashrrev_i32_e32 v4, 31, v14
	v_ashrrev_i32_e32 v14, 31, v18
	;; [unrolled: 1-line block ×6, first 2 shown]
	v_addc_co_u32_e64 v34, s[76:77], 0, -1, s[76:77]
	v_cmp_gt_i64_e64 s[56:57], 0, v[48:49]
	v_not_b32_e32 v39, v49
	v_mov_b32_e32 v49, v5
	v_ashrrev_i32_e32 v1, 31, v11
	v_ashrrev_i32_e32 v11, 31, v15
	;; [unrolled: 1-line block ×4, first 2 shown]
	v_cmp_eq_u32_e64 s[70:71], 1, v59
	v_ashrrev_i32_e32 v23, 31, v27
	v_ashrrev_i32_e32 v27, 31, v31
	v_add_co_u32_e64 v31, s[72:73], -1, v52
	v_add_co_u32_e64 v59, s[76:77], -1, v59
	v_cmp_gt_i64_e64 s[58:59], 0, v[49:50]
	v_not_b32_e32 v40, v50
	v_mov_b32_e32 v50, v5
	v_not_b32_e32 v41, v51
	v_ashrrev_i32_e32 v2, 31, v12
	v_ashrrev_i32_e32 v12, 31, v16
	;; [unrolled: 1-line block ×6, first 2 shown]
	v_addc_co_u32_e64 v32, s[72:73], 0, -1, s[72:73]
	v_addc_co_u32_e64 v60, s[76:77], 0, -1, s[76:77]
	v_cmp_gt_i64_e64 s[60:61], 0, v[50:51]
	v_cmp_eq_u32_e64 s[72:73], 1, v69
	v_ashrrev_i32_e32 v35, 31, v35
	v_ashrrev_i32_e32 v36, 31, v36
	;; [unrolled: 1-line block ×8, first 2 shown]
	v_add_co_u32_e64 v69, s[76:77], -1, v69
	v_cmp_eq_u32_e64 s[66:67], 1, v52
	v_cmp_eq_u32_e64 s[68:69], 1, v53
	v_mov_b32_e32 v43, v1
	v_mov_b32_e32 v44, v2
	;; [unrolled: 1-line block ×24, first 2 shown]
	v_addc_co_u32_e64 v70, s[76:77], 0, -1, s[76:77]
	v_mov_b32_e32 v71, v35
	v_mov_b32_e32 v72, v36
	;; [unrolled: 1-line block ×8, first 2 shown]
	s_branch .LBB15_2
.LBB15_1:                               ;   in Loop: Header=BB15_2 Depth=1
	s_or_b64 exec, exec, s[80:81]
	s_add_i32 s7, s7, -1
	s_cmp_eq_u32 s7, 0
	s_waitcnt lgkmcnt(0)
	s_barrier
	s_cbranch_scc1 .LBB15_12
.LBB15_2:                               ; =>This Inner Loop Header: Depth=1
	s_and_saveexec_b64 s[76:77], s[64:65]
; %bb.3:                                ;   in Loop: Header=BB15_2 Depth=1
	ds_write_b32 v6, v5
; %bb.4:                                ;   in Loop: Header=BB15_2 Depth=1
	s_or_b64 exec, exec, s[76:77]
	v_cndmask_b32_e64 v79, 0, 1, s[66:67]
	v_cmp_ne_u32_e64 s[76:77], 0, v79
	v_cndmask_b32_e64 v81, 0, 1, vcc
	v_xor_b32_e32 v79, s77, v32
	v_xor_b32_e32 v80, s76, v31
	v_cmp_ne_u32_e64 s[76:77], 0, v81
	v_and_b32_e32 v79, exec_hi, v79
	v_xor_b32_e32 v81, s77, v43
	v_and_b32_e32 v79, v79, v81
	v_cndmask_b32_e64 v81, 0, 1, s[0:1]
	v_xor_b32_e32 v82, s76, v1
	v_cmp_ne_u32_e64 s[76:77], 0, v81
	v_xor_b32_e32 v81, s77, v44
	v_and_b32_e32 v80, exec_lo, v80
	v_and_b32_e32 v79, v79, v81
	v_cndmask_b32_e64 v81, 0, 1, s[2:3]
	v_and_b32_e32 v80, v80, v82
	v_xor_b32_e32 v82, s76, v2
	v_cmp_ne_u32_e64 s[76:77], 0, v81
	v_xor_b32_e32 v81, s77, v45
	v_and_b32_e32 v79, v79, v81
	v_cndmask_b32_e64 v81, 0, 1, s[4:5]
	v_and_b32_e32 v80, v80, v82
	v_xor_b32_e32 v82, s76, v3
	v_cmp_ne_u32_e64 s[76:77], 0, v81
	v_xor_b32_e32 v81, s77, v46
	;; [unrolled: 6-line block ×5, first 2 shown]
	v_and_b32_e32 v79, v79, v81
	v_cndmask_b32_e64 v81, 0, 1, s[12:13]
	v_and_b32_e32 v80, v80, v82
	v_xor_b32_e32 v82, s76, v13
	v_cmp_ne_u32_e64 s[76:77], 0, v81
	v_and_b32_e32 v80, v80, v82
	v_xor_b32_e32 v82, s76, v14
	v_xor_b32_e32 v81, s77, v50
	v_and_b32_e32 v80, v80, v82
	v_and_b32_e32 v79, v79, v81
	v_mbcnt_lo_u32_b32 v81, v80, 0
	v_mbcnt_hi_u32_b32 v81, v79, v81
	v_cmp_eq_u32_e64 s[76:77], 0, v81
	s_waitcnt lgkmcnt(0)
	s_barrier
	s_and_saveexec_b64 s[80:81], s[76:77]
; %bb.5:                                ;   in Loop: Header=BB15_2 Depth=1
	v_bcnt_u32_b32 v80, v80, 0
	v_bcnt_u32_b32 v79, v79, v80
	ds_add_u32 v7, v79
; %bb.6:                                ;   in Loop: Header=BB15_2 Depth=1
	s_or_b64 exec, exec, s[80:81]
	v_cndmask_b32_e64 v79, 0, 1, s[68:69]
	v_cmp_ne_u32_e64 s[76:77], 0, v79
	v_cndmask_b32_e64 v81, 0, 1, s[14:15]
	v_xor_b32_e32 v79, s77, v34
	v_xor_b32_e32 v80, s76, v33
	v_cmp_ne_u32_e64 s[76:77], 0, v81
	v_and_b32_e32 v79, exec_hi, v79
	v_xor_b32_e32 v81, s77, v51
	v_and_b32_e32 v79, v79, v81
	v_cndmask_b32_e64 v81, 0, 1, s[16:17]
	v_xor_b32_e32 v82, s76, v15
	v_cmp_ne_u32_e64 s[76:77], 0, v81
	v_xor_b32_e32 v81, s77, v52
	v_and_b32_e32 v80, exec_lo, v80
	v_and_b32_e32 v79, v79, v81
	v_cndmask_b32_e64 v81, 0, 1, s[18:19]
	v_and_b32_e32 v80, v80, v82
	v_xor_b32_e32 v82, s76, v16
	v_cmp_ne_u32_e64 s[76:77], 0, v81
	v_xor_b32_e32 v81, s77, v53
	v_and_b32_e32 v79, v79, v81
	v_cndmask_b32_e64 v81, 0, 1, s[20:21]
	v_and_b32_e32 v80, v80, v82
	v_xor_b32_e32 v82, s76, v17
	v_cmp_ne_u32_e64 s[76:77], 0, v81
	v_xor_b32_e32 v81, s77, v54
	;; [unrolled: 6-line block ×5, first 2 shown]
	v_and_b32_e32 v79, v79, v81
	v_cndmask_b32_e64 v81, 0, 1, s[28:29]
	v_and_b32_e32 v80, v80, v82
	v_xor_b32_e32 v82, s76, v21
	v_cmp_ne_u32_e64 s[76:77], 0, v81
	v_and_b32_e32 v80, v80, v82
	v_xor_b32_e32 v82, s76, v22
	v_xor_b32_e32 v81, s77, v58
	v_and_b32_e32 v80, v80, v82
	v_and_b32_e32 v79, v79, v81
	v_mbcnt_lo_u32_b32 v81, v80, 0
	v_mbcnt_hi_u32_b32 v81, v79, v81
	v_cmp_eq_u32_e64 s[76:77], 0, v81
	s_and_saveexec_b64 s[80:81], s[76:77]
; %bb.7:                                ;   in Loop: Header=BB15_2 Depth=1
	v_bcnt_u32_b32 v80, v80, 0
	v_bcnt_u32_b32 v79, v79, v80
	ds_add_u32 v8, v79
; %bb.8:                                ;   in Loop: Header=BB15_2 Depth=1
	s_or_b64 exec, exec, s[80:81]
	v_cndmask_b32_e64 v79, 0, 1, s[70:71]
	v_cmp_ne_u32_e64 s[76:77], 0, v79
	v_cndmask_b32_e64 v81, 0, 1, s[30:31]
	v_xor_b32_e32 v79, s77, v60
	v_xor_b32_e32 v80, s76, v59
	v_cmp_ne_u32_e64 s[76:77], 0, v81
	v_and_b32_e32 v79, exec_hi, v79
	v_xor_b32_e32 v81, s77, v61
	v_and_b32_e32 v79, v79, v81
	v_cndmask_b32_e64 v81, 0, 1, s[34:35]
	v_xor_b32_e32 v82, s76, v23
	v_cmp_ne_u32_e64 s[76:77], 0, v81
	v_xor_b32_e32 v81, s77, v62
	v_and_b32_e32 v80, exec_lo, v80
	v_and_b32_e32 v79, v79, v81
	v_cndmask_b32_e64 v81, 0, 1, s[36:37]
	v_and_b32_e32 v80, v80, v82
	v_xor_b32_e32 v82, s76, v24
	v_cmp_ne_u32_e64 s[76:77], 0, v81
	v_xor_b32_e32 v81, s77, v63
	v_and_b32_e32 v79, v79, v81
	v_cndmask_b32_e64 v81, 0, 1, s[38:39]
	v_and_b32_e32 v80, v80, v82
	v_xor_b32_e32 v82, s76, v25
	v_cmp_ne_u32_e64 s[76:77], 0, v81
	v_xor_b32_e32 v81, s77, v64
	;; [unrolled: 6-line block ×5, first 2 shown]
	v_and_b32_e32 v79, v79, v81
	v_cndmask_b32_e64 v81, 0, 1, s[46:47]
	v_and_b32_e32 v80, v80, v82
	v_xor_b32_e32 v82, s76, v29
	v_cmp_ne_u32_e64 s[76:77], 0, v81
	v_and_b32_e32 v80, v80, v82
	v_xor_b32_e32 v82, s76, v30
	v_xor_b32_e32 v81, s77, v68
	v_and_b32_e32 v80, v80, v82
	v_and_b32_e32 v79, v79, v81
	v_mbcnt_lo_u32_b32 v81, v80, 0
	v_mbcnt_hi_u32_b32 v81, v79, v81
	v_cmp_eq_u32_e64 s[76:77], 0, v81
	s_and_saveexec_b64 s[80:81], s[76:77]
; %bb.9:                                ;   in Loop: Header=BB15_2 Depth=1
	v_bcnt_u32_b32 v80, v80, 0
	v_bcnt_u32_b32 v79, v79, v80
	ds_add_u32 v9, v79
; %bb.10:                               ;   in Loop: Header=BB15_2 Depth=1
	s_or_b64 exec, exec, s[80:81]
	v_cndmask_b32_e64 v79, 0, 1, s[72:73]
	v_cmp_ne_u32_e64 s[76:77], 0, v79
	v_cndmask_b32_e64 v81, 0, 1, s[48:49]
	v_xor_b32_e32 v79, s77, v70
	v_xor_b32_e32 v80, s76, v69
	v_cmp_ne_u32_e64 s[76:77], 0, v81
	v_and_b32_e32 v79, exec_hi, v79
	v_xor_b32_e32 v81, s77, v71
	v_and_b32_e32 v79, v79, v81
	v_cndmask_b32_e64 v81, 0, 1, s[50:51]
	v_xor_b32_e32 v82, s76, v35
	v_cmp_ne_u32_e64 s[76:77], 0, v81
	v_xor_b32_e32 v81, s77, v72
	v_and_b32_e32 v80, exec_lo, v80
	v_and_b32_e32 v79, v79, v81
	v_cndmask_b32_e64 v81, 0, 1, s[52:53]
	v_and_b32_e32 v80, v80, v82
	v_xor_b32_e32 v82, s76, v36
	v_cmp_ne_u32_e64 s[76:77], 0, v81
	v_xor_b32_e32 v81, s77, v73
	v_and_b32_e32 v79, v79, v81
	v_cndmask_b32_e64 v81, 0, 1, s[54:55]
	v_and_b32_e32 v80, v80, v82
	v_xor_b32_e32 v82, s76, v37
	v_cmp_ne_u32_e64 s[76:77], 0, v81
	v_xor_b32_e32 v81, s77, v74
	;; [unrolled: 6-line block ×5, first 2 shown]
	v_and_b32_e32 v79, v79, v81
	v_cndmask_b32_e64 v81, 0, 1, s[62:63]
	v_and_b32_e32 v80, v80, v82
	v_xor_b32_e32 v82, s76, v41
	v_cmp_ne_u32_e64 s[76:77], 0, v81
	v_and_b32_e32 v80, v80, v82
	v_xor_b32_e32 v82, s76, v42
	v_xor_b32_e32 v81, s77, v78
	v_and_b32_e32 v80, v80, v82
	v_and_b32_e32 v79, v79, v81
	v_mbcnt_lo_u32_b32 v81, v80, 0
	v_mbcnt_hi_u32_b32 v81, v79, v81
	v_cmp_eq_u32_e64 s[76:77], 0, v81
	s_and_saveexec_b64 s[80:81], s[76:77]
	s_cbranch_execz .LBB15_1
; %bb.11:                               ;   in Loop: Header=BB15_2 Depth=1
	v_bcnt_u32_b32 v80, v80, 0
	v_bcnt_u32_b32 v79, v79, v80
	ds_add_u32 v10, v79
	s_branch .LBB15_1
.LBB15_12:
	s_and_saveexec_b64 s[0:1], s[64:65]
	s_cbranch_execz .LBB15_14
; %bb.13:
	v_lshl_or_b32 v0, s6, 9, v0
	v_mov_b32_e32 v1, 0
	ds_read_b32 v3, v6
	v_lshlrev_b64 v[0:1], 2, v[0:1]
	v_mov_b32_e32 v2, s79
	v_add_co_u32_e32 v0, vcc, s78, v0
	v_addc_co_u32_e32 v1, vcc, v2, v1, vcc
	s_waitcnt lgkmcnt(0)
	global_store_dword v[0:1], v3, off
.LBB15_14:
	s_endpgm
	.section	.rodata,"a",@progbits
	.p2align	6, 0x0
	.amdhsa_kernel _Z6kernelI9histogramILN6hipcub23BlockHistogramAlgorithmE0EEiLj512ELj4ELj512ELj100EEvPKT0_PS4_
		.amdhsa_group_segment_fixed_size 2048
		.amdhsa_private_segment_fixed_size 0
		.amdhsa_kernarg_size 16
		.amdhsa_user_sgpr_count 6
		.amdhsa_user_sgpr_private_segment_buffer 1
		.amdhsa_user_sgpr_dispatch_ptr 0
		.amdhsa_user_sgpr_queue_ptr 0
		.amdhsa_user_sgpr_kernarg_segment_ptr 1
		.amdhsa_user_sgpr_dispatch_id 0
		.amdhsa_user_sgpr_flat_scratch_init 0
		.amdhsa_user_sgpr_private_segment_size 0
		.amdhsa_uses_dynamic_stack 0
		.amdhsa_system_sgpr_private_segment_wavefront_offset 0
		.amdhsa_system_sgpr_workgroup_id_x 1
		.amdhsa_system_sgpr_workgroup_id_y 0
		.amdhsa_system_sgpr_workgroup_id_z 0
		.amdhsa_system_sgpr_workgroup_info 0
		.amdhsa_system_vgpr_workitem_id 0
		.amdhsa_next_free_vgpr 83
		.amdhsa_next_free_sgpr 82
		.amdhsa_reserve_vcc 1
		.amdhsa_reserve_flat_scratch 0
		.amdhsa_float_round_mode_32 0
		.amdhsa_float_round_mode_16_64 0
		.amdhsa_float_denorm_mode_32 3
		.amdhsa_float_denorm_mode_16_64 3
		.amdhsa_dx10_clamp 1
		.amdhsa_ieee_mode 1
		.amdhsa_fp16_overflow 0
		.amdhsa_exception_fp_ieee_invalid_op 0
		.amdhsa_exception_fp_denorm_src 0
		.amdhsa_exception_fp_ieee_div_zero 0
		.amdhsa_exception_fp_ieee_overflow 0
		.amdhsa_exception_fp_ieee_underflow 0
		.amdhsa_exception_fp_ieee_inexact 0
		.amdhsa_exception_int_div_zero 0
	.end_amdhsa_kernel
	.section	.text._Z6kernelI9histogramILN6hipcub23BlockHistogramAlgorithmE0EEiLj512ELj4ELj512ELj100EEvPKT0_PS4_,"axG",@progbits,_Z6kernelI9histogramILN6hipcub23BlockHistogramAlgorithmE0EEiLj512ELj4ELj512ELj100EEvPKT0_PS4_,comdat
.Lfunc_end15:
	.size	_Z6kernelI9histogramILN6hipcub23BlockHistogramAlgorithmE0EEiLj512ELj4ELj512ELj100EEvPKT0_PS4_, .Lfunc_end15-_Z6kernelI9histogramILN6hipcub23BlockHistogramAlgorithmE0EEiLj512ELj4ELj512ELj100EEvPKT0_PS4_
                                        ; -- End function
	.set _Z6kernelI9histogramILN6hipcub23BlockHistogramAlgorithmE0EEiLj512ELj4ELj512ELj100EEvPKT0_PS4_.num_vgpr, 83
	.set _Z6kernelI9histogramILN6hipcub23BlockHistogramAlgorithmE0EEiLj512ELj4ELj512ELj100EEvPKT0_PS4_.num_agpr, 0
	.set _Z6kernelI9histogramILN6hipcub23BlockHistogramAlgorithmE0EEiLj512ELj4ELj512ELj100EEvPKT0_PS4_.numbered_sgpr, 82
	.set _Z6kernelI9histogramILN6hipcub23BlockHistogramAlgorithmE0EEiLj512ELj4ELj512ELj100EEvPKT0_PS4_.num_named_barrier, 0
	.set _Z6kernelI9histogramILN6hipcub23BlockHistogramAlgorithmE0EEiLj512ELj4ELj512ELj100EEvPKT0_PS4_.private_seg_size, 0
	.set _Z6kernelI9histogramILN6hipcub23BlockHistogramAlgorithmE0EEiLj512ELj4ELj512ELj100EEvPKT0_PS4_.uses_vcc, 1
	.set _Z6kernelI9histogramILN6hipcub23BlockHistogramAlgorithmE0EEiLj512ELj4ELj512ELj100EEvPKT0_PS4_.uses_flat_scratch, 0
	.set _Z6kernelI9histogramILN6hipcub23BlockHistogramAlgorithmE0EEiLj512ELj4ELj512ELj100EEvPKT0_PS4_.has_dyn_sized_stack, 0
	.set _Z6kernelI9histogramILN6hipcub23BlockHistogramAlgorithmE0EEiLj512ELj4ELj512ELj100EEvPKT0_PS4_.has_recursion, 0
	.set _Z6kernelI9histogramILN6hipcub23BlockHistogramAlgorithmE0EEiLj512ELj4ELj512ELj100EEvPKT0_PS4_.has_indirect_call, 0
	.section	.AMDGPU.csdata,"",@progbits
; Kernel info:
; codeLenInByte = 2592
; TotalNumSgprs: 86
; NumVgprs: 83
; ScratchSize: 0
; MemoryBound: 0
; FloatMode: 240
; IeeeMode: 1
; LDSByteSize: 2048 bytes/workgroup (compile time only)
; SGPRBlocks: 10
; VGPRBlocks: 20
; NumSGPRsForWavesPerEU: 86
; NumVGPRsForWavesPerEU: 83
; Occupancy: 3
; WaveLimiterHint : 0
; COMPUTE_PGM_RSRC2:SCRATCH_EN: 0
; COMPUTE_PGM_RSRC2:USER_SGPR: 6
; COMPUTE_PGM_RSRC2:TRAP_HANDLER: 0
; COMPUTE_PGM_RSRC2:TGID_X_EN: 1
; COMPUTE_PGM_RSRC2:TGID_Y_EN: 0
; COMPUTE_PGM_RSRC2:TGID_Z_EN: 0
; COMPUTE_PGM_RSRC2:TIDIG_COMP_CNT: 0
	.section	.text._Z6kernelI9histogramILN6hipcub23BlockHistogramAlgorithmE0EEiLj512ELj8ELj512ELj100EEvPKT0_PS4_,"axG",@progbits,_Z6kernelI9histogramILN6hipcub23BlockHistogramAlgorithmE0EEiLj512ELj8ELj512ELj100EEvPKT0_PS4_,comdat
	.protected	_Z6kernelI9histogramILN6hipcub23BlockHistogramAlgorithmE0EEiLj512ELj8ELj512ELj100EEvPKT0_PS4_ ; -- Begin function _Z6kernelI9histogramILN6hipcub23BlockHistogramAlgorithmE0EEiLj512ELj8ELj512ELj100EEvPKT0_PS4_
	.globl	_Z6kernelI9histogramILN6hipcub23BlockHistogramAlgorithmE0EEiLj512ELj8ELj512ELj100EEvPKT0_PS4_
	.p2align	8
	.type	_Z6kernelI9histogramILN6hipcub23BlockHistogramAlgorithmE0EEiLj512ELj8ELj512ELj100EEvPKT0_PS4_,@function
_Z6kernelI9histogramILN6hipcub23BlockHistogramAlgorithmE0EEiLj512ELj8ELj512ELj100EEvPKT0_PS4_: ; @_Z6kernelI9histogramILN6hipcub23BlockHistogramAlgorithmE0EEiLj512ELj8ELj512ELj100EEvPKT0_PS4_
; %bb.0:
	s_mov_b64 s[98:99], s[2:3]
	s_mov_b64 s[96:97], s[0:1]
	s_load_dwordx4 s[0:3], s[4:5], 0x0
	s_add_u32 s96, s96, s7
	v_lshlrev_b32_e32 v1, 3, v0
	s_addc_u32 s97, s97, 0
	v_lshl_or_b32 v4, s6, 12, v1
	v_mov_b32_e32 v5, 0
	buffer_store_dword v0, off, s[96:99], 0 offset:128 ; 4-byte Folded Spill
                                        ; implicit-def: $vgpr127 : SGPR spill to VGPR lane
	v_lshlrev_b64 v[0:1], 2, v[4:5]
	v_writelane_b32 v127, s6, 0
	s_waitcnt lgkmcnt(0)
	v_mov_b32_e32 v2, s1
	v_writelane_b32 v127, s0, 1
	v_add_co_u32_e32 v6, vcc, s0, v0
	v_addc_co_u32_e32 v7, vcc, v2, v1, vcc
	global_load_dwordx4 v[1:4], v[6:7], off
	global_load_dwordx4 v[9:12], v[6:7], off offset:16
	v_writelane_b32 v127, s1, 2
	v_writelane_b32 v127, s2, 3
	v_mov_b32_e32 v54, v5
	v_writelane_b32 v127, s3, 4
	v_mov_b32_e32 v52, v5
	v_mov_b32_e32 v50, v5
	;; [unrolled: 1-line block ×10, first 2 shown]
	s_movk_i32 s6, 0x200
	s_movk_i32 s33, 0x64
	s_waitcnt vmcnt(1)
	v_lshlrev_b32_e32 v0, 2, v1
	buffer_store_dword v0, off, s[96:99], 0 offset:96 ; 4-byte Folded Spill
	v_lshlrev_b32_e32 v0, 2, v2
	buffer_store_dword v0, off, s[96:99], 0 offset:100 ; 4-byte Folded Spill
	v_lshlrev_b32_e32 v0, 2, v3
	v_lshlrev_b32_e32 v55, 30, v1
	buffer_store_dword v0, off, s[96:99], 0 offset:104 ; 4-byte Folded Spill
	v_lshlrev_b32_e32 v0, 2, v4
	buffer_store_dword v0, off, s[96:99], 0 offset:108 ; 4-byte Folded Spill
	s_waitcnt vmcnt(4)
	v_lshlrev_b32_e32 v0, 2, v9
	v_cmp_gt_i64_e64 s[0:1], 0, v[54:55]
	buffer_store_dword v0, off, s[96:99], 0 offset:112 ; 4-byte Folded Spill
	v_lshlrev_b32_e32 v0, 2, v10
	v_lshlrev_b32_e32 v56, 29, v1
	v_and_b32_e32 v7, 1, v4
	v_lshlrev_b32_e32 v79, 30, v4
	v_lshlrev_b32_e32 v80, 29, v4
	;; [unrolled: 1-line block ×8, first 2 shown]
	buffer_store_dword v0, off, s[96:99], 0 offset:116 ; 4-byte Folded Spill
	v_lshlrev_b32_e32 v0, 2, v11
	v_writelane_b32 v127, s0, 5
	v_not_b32_e32 v4, v55
	v_mov_b32_e32 v55, v5
	v_and_b32_e32 v38, 1, v1
	v_and_b32_e32 v46, 1, v2
	v_lshlrev_b32_e32 v57, 28, v1
	v_lshlrev_b32_e32 v58, 27, v1
	;; [unrolled: 1-line block ×6, first 2 shown]
	v_and_b32_e32 v15, 1, v9
	buffer_store_dword v0, off, s[96:99], 0 offset:120 ; 4-byte Folded Spill
	v_lshlrev_b32_e32 v0, 2, v12
	v_lshlrev_b32_e32 v1, 23, v12
	v_writelane_b32 v127, s1, 6
	v_cmp_gt_i64_e64 s[0:1], 0, v[55:56]
	buffer_store_dword v38, off, s[96:99], 0 offset:92 ; 4-byte Folded Spill
	buffer_store_dword v46, off, s[96:99], 0 offset:132 ; 4-byte Folded Spill
	;; [unrolled: 1-line block ×5, first 2 shown]
	s_nop 0
	buffer_store_dword v1, off, s[96:99], 0 offset:68 ; 4-byte Folded Spill
	v_writelane_b32 v127, s0, 7
	v_not_b32_e32 v1, v56
	v_mov_b32_e32 v56, v5
	v_writelane_b32 v127, s1, 8
	v_cmp_gt_i64_e64 s[0:1], 0, v[56:57]
	v_and_b32_e32 v40, 1, v3
	v_lshlrev_b32_e32 v71, 30, v3
	v_lshlrev_b32_e32 v72, 29, v3
	;; [unrolled: 1-line block ×8, first 2 shown]
	v_writelane_b32 v127, s0, 9
	v_not_b32_e32 v3, v57
	v_mov_b32_e32 v57, v5
	v_writelane_b32 v127, s1, 10
	v_cmp_gt_i64_e64 s[0:1], 0, v[57:58]
	v_not_b32_e32 v6, v58
	v_writelane_b32 v127, s0, 11
	v_mov_b32_e32 v58, v5
	v_writelane_b32 v127, s1, 12
	v_cmp_gt_i64_e64 s[0:1], 0, v[58:59]
	v_not_b32_e32 v8, v59
	v_writelane_b32 v127, s0, 13
	v_mov_b32_e32 v59, v5
	v_writelane_b32 v127, s1, 14
	v_cmp_gt_i64_e64 s[0:1], 0, v[59:60]
	v_lshlrev_b32_e32 v87, 30, v9
	v_lshlrev_b32_e32 v88, 29, v9
	;; [unrolled: 1-line block ×8, first 2 shown]
	v_writelane_b32 v127, s0, 15
	v_not_b32_e32 v9, v60
	v_mov_b32_e32 v60, v5
	v_writelane_b32 v127, s1, 16
	v_cmp_gt_i64_e64 s[0:1], 0, v[60:61]
	v_lshlrev_b32_e32 v63, 30, v2
	v_lshlrev_b32_e32 v64, 29, v2
	;; [unrolled: 1-line block ×8, first 2 shown]
	v_and_b32_e32 v13, 1, v11
	v_and_b32_e32 v2, 1, v12
	v_lshlrev_b32_e32 v33, 30, v11
	v_lshlrev_b32_e32 v31, 29, v11
	;; [unrolled: 1-line block ×15, first 2 shown]
	v_writelane_b32 v127, s0, 17
	v_not_b32_e32 v12, v61
	v_mov_b32_e32 v61, v5
	v_writelane_b32 v127, s1, 18
	v_cmp_gt_i64_e64 s[0:1], 0, v[61:62]
	v_and_b32_e32 v42, 1, v10
	v_lshlrev_b32_e32 v49, 30, v10
	v_lshlrev_b32_e32 v47, 29, v10
	;; [unrolled: 1-line block ×8, first 2 shown]
	v_writelane_b32 v127, s0, 19
	v_not_b32_e32 v10, v62
	v_mov_b32_e32 v62, v5
	v_writelane_b32 v127, s1, 20
	v_cmp_gt_i64_e64 s[0:1], 0, v[62:63]
	v_not_b32_e32 v17, v63
	v_writelane_b32 v127, s0, 21
	v_mov_b32_e32 v63, v5
	v_writelane_b32 v127, s1, 22
	v_cmp_gt_i64_e64 s[0:1], 0, v[63:64]
	v_not_b32_e32 v18, v64
	v_writelane_b32 v127, s0, 23
	;; [unrolled: 5-line block ×18, first 2 shown]
	v_mov_b32_e32 v80, v5
	v_writelane_b32 v127, s1, 56
	v_cmp_gt_i64_e64 s[0:1], 0, v[80:81]
	v_add_co_u32_e32 v38, vcc, -1, v38
	v_writelane_b32 v127, s0, 57
	v_writelane_b32 v127, s1, 58
	buffer_store_dword v38, off, s[96:99], 0 ; 4-byte Folded Spill
	v_addc_co_u32_e64 v38, s[0:1], 0, -1, vcc
	buffer_store_dword v38, off, s[96:99], 0 offset:4 ; 4-byte Folded Spill
	v_add_co_u32_e32 v38, vcc, -1, v46
	buffer_store_dword v38, off, s[96:99], 0 offset:8 ; 4-byte Folded Spill
	v_addc_co_u32_e64 v38, s[0:1], 0, -1, vcc
	v_mov_b32_e32 v55, v40
	buffer_store_dword v38, off, s[96:99], 0 offset:12 ; 4-byte Folded Spill
	v_add_co_u32_e32 v38, vcc, -1, v55
	buffer_store_dword v38, off, s[96:99], 0 offset:16 ; 4-byte Folded Spill
	v_addc_co_u32_e64 v38, s[0:1], 0, -1, vcc
	v_mov_b32_e32 v75, v7
	buffer_store_dword v38, off, s[96:99], 0 offset:20 ; 4-byte Folded Spill
	v_add_co_u32_e32 v38, vcc, -1, v75
	buffer_store_dword v38, off, s[96:99], 0 offset:24 ; 4-byte Folded Spill
	v_addc_co_u32_e64 v38, s[0:1], 0, -1, vcc
	buffer_store_dword v38, off, s[96:99], 0 offset:28 ; 4-byte Folded Spill
	v_add_co_u32_e32 v38, vcc, -1, v15
	buffer_store_dword v38, off, s[96:99], 0 offset:32 ; 4-byte Folded Spill
	v_addc_co_u32_e64 v38, s[0:1], 0, -1, vcc
	;; [unrolled: 4-line block ×3, first 2 shown]
	v_mov_b32_e32 v54, v13
	buffer_store_dword v38, off, s[96:99], 0 offset:44 ; 4-byte Folded Spill
	v_add_co_u32_e32 v38, vcc, -1, v54
	v_cmp_gt_i64_e64 s[76:77], 0, v[52:53]
	v_not_b32_e32 v52, v53
	buffer_store_dword v38, off, s[96:99], 0 offset:48 ; 4-byte Folded Spill
	v_addc_co_u32_e64 v38, s[0:1], 0, -1, vcc
	v_mov_b32_e32 v0, v2
	v_not_b32_e32 v53, v51
	buffer_store_dword v38, off, s[96:99], 0 offset:52 ; 4-byte Folded Spill
	v_add_co_u32_e32 v38, vcc, -1, v0
	v_ashrrev_i32_e32 v114, 31, v10
	v_ashrrev_i32_e32 v10, 31, v52
	buffer_store_dword v38, off, s[96:99], 0 offset:56 ; 4-byte Folded Spill
	v_addc_co_u32_e64 v38, s[0:1], 0, -1, vcc
	buffer_store_dword v10, off, s[96:99], 0 offset:140 ; 4-byte Folded Spill
	v_ashrrev_i32_e32 v10, 31, v53
	buffer_store_dword v38, off, s[96:99], 0 offset:60 ; 4-byte Folded Spill
	buffer_store_dword v10, off, s[96:99], 0 offset:144 ; 4-byte Folded Spill
	buffer_load_dword v52, off, s[96:99], 0 offset:64 ; 4-byte Folded Reload
	buffer_load_dword v53, off, s[96:99], 0 offset:68 ; 4-byte Folded Reload
	v_cmp_gt_i64_e64 s[78:79], 0, v[50:51]
	v_ashrrev_i32_e32 v51, 31, v4
	s_waitcnt vmcnt(1)
	v_mov_b32_e32 v52, v5
	buffer_store_dword v51, off, s[96:99], 0 offset:64 ; 4-byte Folded Spill
	buffer_store_dword v51, off, s[96:99], 0 offset:80 ; 4-byte Folded Spill
	v_ashrrev_i32_e32 v70, 31, v1
	v_ashrrev_i32_e32 v71, 31, v3
	;; [unrolled: 1-line block ×4, first 2 shown]
	v_mov_b32_e32 v32, v5
	v_mov_b32_e32 v24, v5
	;; [unrolled: 1-line block ×3, first 2 shown]
	v_cmp_gt_i64_e64 s[84:85], 0, v[44:45]
	v_not_b32_e32 v44, v45
	v_not_b32_e32 v45, v43
	v_ashrrev_i32_e32 v72, 31, v6
	v_ashrrev_i32_e32 v6, 31, v41
	buffer_store_dword v70, off, s[96:99], 0 offset:72 ; 4-byte Folded Spill
	buffer_store_dword v70, off, s[96:99], 0 offset:84 ; 4-byte Folded Spill
	v_not_b32_e32 v41, v33
	buffer_store_dword v71, off, s[96:99], 0 offset:76 ; 4-byte Folded Spill
	buffer_store_dword v71, off, s[96:99], 0 offset:88 ; 4-byte Folded Spill
	v_cmp_gt_i64_e64 s[0:1], 0, v[32:33]
	v_not_b32_e32 v33, v25
	v_cmp_gt_i64_e64 s[8:9], 0, v[24:25]
	v_not_b32_e32 v25, v11
	v_cmp_gt_i64_e64 s[16:17], 0, v[10:11]
	v_ashrrev_i32_e32 v110, 31, v60
	v_ashrrev_i32_e32 v60, 31, v45
	v_not_b32_e32 v61, v81
	v_mov_b32_e32 v81, v5
	v_cmp_gt_i64_e64 s[54:55], 0, v[81:82]
	v_not_b32_e32 v62, v82
	v_mov_b32_e32 v82, v5
	v_cmp_gt_i64_e64 s[56:57], 0, v[82:83]
	;; [unrolled: 3-line block ×4, first 2 shown]
	v_not_b32_e32 v65, v85
	v_mov_b32_e32 v85, v5
	v_not_b32_e32 v67, v87
	v_mov_b32_e32 v74, v42
	v_mov_b32_e32 v42, v5
	v_ashrrev_i32_e32 v73, 31, v8
	v_ashrrev_i32_e32 v123, 31, v26
	;; [unrolled: 1-line block ×3, first 2 shown]
	v_mov_b32_e32 v34, v5
	v_mov_b32_e32 v26, v5
	v_cmp_gt_i64_e64 s[62:63], 0, v[85:86]
	v_not_b32_e32 v66, v86
	v_mov_b32_e32 v86, v5
	v_mov_b32_e32 v13, v5
	v_ashrrev_i32_e32 v119, 31, v18
	v_ashrrev_i32_e32 v107, 31, v64
	;; [unrolled: 1-line block ×3, first 2 shown]
	v_mov_b32_e32 v18, v5
	v_cmp_gt_i64_e64 s[86:87], 0, v[42:43]
	v_not_b32_e32 v43, v35
	v_cmp_gt_i64_e64 s[94:95], 0, v[34:35]
	v_not_b32_e32 v35, v27
	;; [unrolled: 2-line block ×3, first 2 shown]
	v_cmp_gt_i64_e64 s[64:65], 0, v[86:87]
	v_cmp_gt_i64_e64 s[88:89], 0, v[13:14]
	v_mov_b32_e32 v83, v119
	v_mov_b32_e32 v24, v119
	v_cmp_gt_i64_e64 s[14:15], 0, v[18:19]
	v_mov_b32_e32 v86, v122
	v_mov_b32_e32 v18, v122
	v_not_b32_e32 v13, v104
	v_cmp_gt_i64_e64 s[28:29], 0, v[103:104]
	v_mov_b32_e32 v103, v107
	v_mov_b32_e32 v119, v107
	;; [unrolled: 1-line block ×4, first 2 shown]
	buffer_load_dword v106, off, s[96:99], 0 offset:140 ; 4-byte Folded Reload
	buffer_load_dword v70, off, s[96:99], 0 offset:128 ; 4-byte Folded Reload
	;; [unrolled: 1-line block ×3, first 2 shown]
	v_mov_b32_e32 v87, v5
	s_waitcnt vmcnt(9)
	v_mov_b32_e32 v51, v52
	v_mov_b32_e32 v52, v53
	v_not_b32_e32 v11, v52
	v_ashrrev_i32_e32 v45, 31, v11
	buffer_load_dword v11, off, s[96:99], 0 offset:132 ; 4-byte Folded Reload
	v_cmp_gt_i64_e64 s[30:31], 0, v[51:52]
	v_ashrrev_i32_e32 v51, 31, v27
	buffer_load_dword v27, off, s[96:99], 0 offset:92 ; 4-byte Folded Reload
	v_cmp_gt_i64_e64 s[66:67], 0, v[87:88]
	v_not_b32_e32 v68, v88
	v_mov_b32_e32 v88, v5
	v_cmp_gt_i64_e64 s[68:69], 0, v[88:89]
	v_not_b32_e32 v69, v89
	v_mov_b32_e32 v89, v5
	;; [unrolled: 3-line block ×3, first 2 shown]
	v_mov_b32_e32 v46, v5
	v_mov_b32_e32 v15, v5
	v_ashrrev_i32_e32 v112, 31, v9
	v_ashrrev_i32_e32 v120, 31, v20
	;; [unrolled: 1-line block ×6, first 2 shown]
	v_mov_b32_e32 v36, v5
	v_mov_b32_e32 v30, v5
	;; [unrolled: 1-line block ×5, first 2 shown]
	v_cmp_gt_i64_e64 s[72:73], 0, v[90:91]
	v_not_b32_e32 v78, v91
	v_mov_b32_e32 v91, v5
	v_not_b32_e32 v79, v92
	v_cmp_gt_i64_e64 s[80:81], 0, v[48:49]
	v_not_b32_e32 v48, v49
	v_not_b32_e32 v49, v47
	v_cmp_gt_i64_e64 s[82:83], 0, v[46:47]
	v_not_b32_e32 v46, v14
	v_not_b32_e32 v47, v16
	v_ashrrev_i32_e32 v115, 31, v17
	v_ashrrev_i32_e32 v7, 31, v39
	v_not_b32_e32 v50, v37
	v_cmp_gt_i64_e64 s[90:91], 0, v[15:16]
	v_not_b32_e32 v39, v31
	v_cmp_gt_i64_e64 s[92:93], 0, v[36:37]
	;; [unrolled: 2-line block ×6, first 2 shown]
	v_not_b32_e32 v21, v94
	v_not_b32_e32 v19, v98
	;; [unrolled: 1-line block ×4, first 2 shown]
	v_cmp_gt_i64_e64 s[74:75], 0, v[91:92]
	v_ashrrev_i32_e32 v113, 31, v12
	v_ashrrev_i32_e32 v3, 31, v56
	;; [unrolled: 1-line block ×15, first 2 shown]
	v_cmp_gt_i64_e64 s[18:19], 0, v[95:96]
	v_cmp_gt_i64_e64 s[20:21], 0, v[93:94]
	;; [unrolled: 1-line block ×5, first 2 shown]
	v_ashrrev_i32_e32 v56, 31, v48
	v_ashrrev_i32_e32 v58, 31, v49
	;; [unrolled: 1-line block ×5, first 2 shown]
	s_waitcnt vmcnt(1)
	v_cmp_eq_u32_e64 s[36:37], 1, v11
	buffer_load_dword v11, off, s[96:99], 0 offset:136 ; 4-byte Folded Reload
	v_ashrrev_i32_e32 v62, 31, v50
	v_ashrrev_i32_e32 v63, 31, v43
	;; [unrolled: 1-line block ×16, first 2 shown]
	v_mov_b32_e32 v77, v72
	v_mov_b32_e32 v36, v72
	v_mov_b32_e32 v78, v73
	v_mov_b32_e32 v34, v73
	v_mov_b32_e32 v79, v112
	v_mov_b32_e32 v32, v112
	v_mov_b32_e32 v80, v113
	v_mov_b32_e32 v30, v113
	v_mov_b32_e32 v81, v114
	v_mov_b32_e32 v28, v114
	v_mov_b32_e32 v82, v115
	v_mov_b32_e32 v26, v115
	v_mov_b32_e32 v84, v120
	v_mov_b32_e32 v22, v120
	v_mov_b32_e32 v85, v121
	v_mov_b32_e32 v20, v121
	v_mov_b32_e32 v87, v123
	v_mov_b32_e32 v16, v123
	v_mov_b32_e32 v88, v124
	v_mov_b32_e32 v14, v124
	v_mov_b32_e32 v89, v125
	v_mov_b32_e32 v12, v125
	v_mov_b32_e32 v90, v126
	v_mov_b32_e32 v10, v126
	v_mov_b32_e32 v91, v8
	v_mov_b32_e32 v92, v9
	v_mov_b32_e32 v93, v6
	v_mov_b32_e32 v94, v7
	v_mov_b32_e32 v95, v3
	v_mov_b32_e32 v96, v4
	v_mov_b32_e32 v97, v1
	v_mov_b32_e32 v98, v2
	s_waitcnt vmcnt(1)
	v_cmp_eq_u32_e64 s[34:35], 1, v27
	v_mov_b32_e32 v99, v110
	v_mov_b32_e32 v43, v110
	v_mov_b32_e32 v100, v116
	v_cmp_eq_u32_e64 s[38:39], 1, v55
	v_mov_b32_e32 v101, v117
	v_cmp_eq_u32_e64 s[40:41], 1, v75
	v_mov_b32_e32 v102, v118
	;; [unrolled: 2-line block ×3, first 2 shown]
	v_mov_b32_e32 v120, v108
	v_cmp_eq_u32_e64 s[46:47], 1, v54
	v_mov_b32_e32 v42, v105
	v_mov_b32_e32 v121, v105
	v_cmp_eq_u32_e64 s[48:49], 1, v0
	v_cmp_gt_u32_e64 s[52:53], s6, v70
	v_mov_b32_e32 v54, v109
	v_mov_b32_e32 v123, v109
	;; [unrolled: 1-line block ×15, first 2 shown]
	s_waitcnt vmcnt(0)
	v_cmp_eq_u32_e64 s[42:43], 1, v11
	v_mov_b32_e32 v11, v56
	v_mov_b32_e32 v19, v61
	;; [unrolled: 1-line block ×21, first 2 shown]
	v_lshlrev_b32_e32 v70, 2, v70
	buffer_store_dword v70, off, s[96:99], 0 offset:92 ; 4-byte Folded Spill
	s_branch .LBB16_2
.LBB16_1:                               ;   in Loop: Header=BB16_2 Depth=1
	s_or_b64 exec, exec, s[6:7]
	s_add_i32 s33, s33, -1
	s_cmp_eq_u32 s33, 0
	s_waitcnt lgkmcnt(0)
	s_barrier
	s_cbranch_scc1 .LBB16_20
.LBB16_2:                               ; =>This Inner Loop Header: Depth=1
	s_and_saveexec_b64 s[6:7], s[52:53]
	s_cbranch_execz .LBB16_4
; %bb.3:                                ;   in Loop: Header=BB16_2 Depth=1
	buffer_load_dword v70, off, s[96:99], 0 offset:92 ; 4-byte Folded Reload
	s_waitcnt vmcnt(0)
	ds_write_b32 v70, v5
.LBB16_4:                               ;   in Loop: Header=BB16_2 Depth=1
	s_or_b64 exec, exec, s[6:7]
	v_cndmask_b32_e64 v70, 0, 1, s[34:35]
	s_waitcnt vmcnt(0) lgkmcnt(0)
	s_barrier
	v_cmp_ne_u32_e32 vcc, 0, v70
	buffer_load_dword v70, off, s[96:99], 0 offset:4 ; 4-byte Folded Reload
	buffer_load_dword v73, off, s[96:99], 0 offset:64 ; 4-byte Folded Reload
	buffer_load_dword v71, off, s[96:99], 0 ; 4-byte Folded Reload
	v_readlane_b32 s6, v127, 5
	v_readlane_b32 s7, v127, 6
	v_cndmask_b32_e64 v72, 0, 1, s[6:7]
	v_readlane_b32 s6, v127, 7
	v_readlane_b32 s7, v127, 8
	s_waitcnt vmcnt(2)
	v_xor_b32_e32 v70, vcc_hi, v70
	v_and_b32_e32 v70, exec_hi, v70
	s_waitcnt vmcnt(0)
	v_xor_b32_e32 v71, vcc_lo, v71
	v_cmp_ne_u32_e32 vcc, 0, v72
	buffer_load_dword v72, off, s[96:99], 0 offset:80 ; 4-byte Folded Reload
	v_and_b32_e32 v71, exec_lo, v71
	v_xor_b32_e32 v73, vcc_lo, v73
	v_and_b32_e32 v71, v71, v73
	buffer_load_dword v73, off, s[96:99], 0 offset:72 ; 4-byte Folded Reload
	s_waitcnt vmcnt(1)
	v_xor_b32_e32 v72, vcc_hi, v72
	v_and_b32_e32 v70, v70, v72
	v_cndmask_b32_e64 v72, 0, 1, s[6:7]
	v_cmp_ne_u32_e32 vcc, 0, v72
	buffer_load_dword v72, off, s[96:99], 0 offset:84 ; 4-byte Folded Reload
	s_waitcnt vmcnt(1)
	v_xor_b32_e32 v73, vcc_lo, v73
	v_readlane_b32 s6, v127, 9
	v_and_b32_e32 v71, v71, v73
	v_readlane_b32 s7, v127, 10
	buffer_load_dword v73, off, s[96:99], 0 offset:76 ; 4-byte Folded Reload
	s_waitcnt vmcnt(1)
	v_xor_b32_e32 v72, vcc_hi, v72
	v_and_b32_e32 v70, v70, v72
	v_cndmask_b32_e64 v72, 0, 1, s[6:7]
	v_cmp_ne_u32_e32 vcc, 0, v72
	buffer_load_dword v72, off, s[96:99], 0 offset:88 ; 4-byte Folded Reload
	v_readlane_b32 s6, v127, 11
	v_readlane_b32 s7, v127, 12
	s_waitcnt vmcnt(1)
	v_xor_b32_e32 v73, vcc_lo, v73
	v_and_b32_e32 v71, v71, v73
	s_waitcnt vmcnt(0)
	v_xor_b32_e32 v72, vcc_hi, v72
	v_and_b32_e32 v70, v70, v72
	v_cndmask_b32_e64 v72, 0, 1, s[6:7]
	v_cmp_ne_u32_e32 vcc, 0, v72
	v_readlane_b32 s6, v127, 13
	v_xor_b32_e32 v72, vcc_hi, v36
	v_readlane_b32 s7, v127, 14
	v_and_b32_e32 v70, v70, v72
	v_cndmask_b32_e64 v72, 0, 1, s[6:7]
	v_xor_b32_e32 v73, vcc_lo, v77
	v_cmp_ne_u32_e32 vcc, 0, v72
	v_readlane_b32 s6, v127, 15
	v_xor_b32_e32 v72, vcc_hi, v34
	v_readlane_b32 s7, v127, 16
	v_and_b32_e32 v70, v70, v72
	v_cndmask_b32_e64 v72, 0, 1, s[6:7]
	v_and_b32_e32 v71, v71, v73
	v_xor_b32_e32 v73, vcc_lo, v78
	v_cmp_ne_u32_e32 vcc, 0, v72
	v_readlane_b32 s6, v127, 17
	v_xor_b32_e32 v72, vcc_hi, v32
	v_readlane_b32 s7, v127, 18
	v_and_b32_e32 v70, v70, v72
	v_cndmask_b32_e64 v72, 0, 1, s[6:7]
	v_and_b32_e32 v71, v71, v73
	;; [unrolled: 8-line block ×3, first 2 shown]
	v_xor_b32_e32 v73, vcc_lo, v80
	v_cmp_ne_u32_e32 vcc, 0, v72
	v_and_b32_e32 v71, v71, v73
	v_xor_b32_e32 v73, vcc_lo, v81
	v_xor_b32_e32 v72, vcc_hi, v28
	v_and_b32_e32 v71, v71, v73
	v_and_b32_e32 v70, v70, v72
	v_mbcnt_lo_u32_b32 v72, v71, 0
	v_mbcnt_hi_u32_b32 v72, v70, v72
	v_cmp_eq_u32_e32 vcc, 0, v72
	s_and_saveexec_b64 s[6:7], vcc
	s_cbranch_execz .LBB16_6
; %bb.5:                                ;   in Loop: Header=BB16_2 Depth=1
	v_bcnt_u32_b32 v71, v71, 0
	v_bcnt_u32_b32 v70, v70, v71
	buffer_load_dword v71, off, s[96:99], 0 offset:96 ; 4-byte Folded Reload
	s_waitcnt vmcnt(0)
	ds_add_u32 v71, v70
.LBB16_6:                               ;   in Loop: Header=BB16_2 Depth=1
	s_or_b64 exec, exec, s[6:7]
	v_cndmask_b32_e64 v70, 0, 1, s[36:37]
	v_cmp_ne_u32_e32 vcc, 0, v70
	buffer_load_dword v70, off, s[96:99], 0 offset:12 ; 4-byte Folded Reload
	buffer_load_dword v71, off, s[96:99], 0 offset:8 ; 4-byte Folded Reload
	v_readlane_b32 s6, v127, 21
	v_readlane_b32 s7, v127, 22
	v_cndmask_b32_e64 v72, 0, 1, s[6:7]
	v_readlane_b32 s6, v127, 23
	v_readlane_b32 s7, v127, 24
	s_waitcnt vmcnt(1)
	v_xor_b32_e32 v70, vcc_hi, v70
	s_waitcnt vmcnt(0)
	v_xor_b32_e32 v71, vcc_lo, v71
	v_cmp_ne_u32_e32 vcc, 0, v72
	v_and_b32_e32 v70, exec_hi, v70
	v_xor_b32_e32 v72, vcc_hi, v26
	v_and_b32_e32 v70, v70, v72
	v_cndmask_b32_e64 v72, 0, 1, s[6:7]
	v_xor_b32_e32 v73, vcc_lo, v82
	v_cmp_ne_u32_e32 vcc, 0, v72
	v_readlane_b32 s6, v127, 25
	v_xor_b32_e32 v72, vcc_hi, v24
	v_readlane_b32 s7, v127, 26
	v_and_b32_e32 v71, exec_lo, v71
	v_and_b32_e32 v70, v70, v72
	v_cndmask_b32_e64 v72, 0, 1, s[6:7]
	v_and_b32_e32 v71, v71, v73
	v_xor_b32_e32 v73, vcc_lo, v83
	v_cmp_ne_u32_e32 vcc, 0, v72
	v_readlane_b32 s6, v127, 27
	v_xor_b32_e32 v72, vcc_hi, v22
	v_readlane_b32 s7, v127, 28
	v_and_b32_e32 v70, v70, v72
	v_cndmask_b32_e64 v72, 0, 1, s[6:7]
	v_and_b32_e32 v71, v71, v73
	v_xor_b32_e32 v73, vcc_lo, v84
	v_cmp_ne_u32_e32 vcc, 0, v72
	v_readlane_b32 s6, v127, 29
	v_xor_b32_e32 v72, vcc_hi, v20
	v_readlane_b32 s7, v127, 30
	;; [unrolled: 8-line block ×5, first 2 shown]
	v_and_b32_e32 v70, v70, v72
	v_cndmask_b32_e64 v72, 0, 1, s[6:7]
	v_and_b32_e32 v71, v71, v73
	v_xor_b32_e32 v73, vcc_lo, v88
	v_cmp_ne_u32_e32 vcc, 0, v72
	v_and_b32_e32 v71, v71, v73
	v_xor_b32_e32 v73, vcc_lo, v89
	v_xor_b32_e32 v72, vcc_hi, v12
	v_and_b32_e32 v71, v71, v73
	v_and_b32_e32 v70, v70, v72
	v_mbcnt_lo_u32_b32 v72, v71, 0
	v_mbcnt_hi_u32_b32 v72, v70, v72
	v_cmp_eq_u32_e32 vcc, 0, v72
	s_and_saveexec_b64 s[6:7], vcc
	s_cbranch_execz .LBB16_8
; %bb.7:                                ;   in Loop: Header=BB16_2 Depth=1
	v_bcnt_u32_b32 v71, v71, 0
	v_bcnt_u32_b32 v70, v70, v71
	buffer_load_dword v71, off, s[96:99], 0 offset:100 ; 4-byte Folded Reload
	s_waitcnt vmcnt(0)
	ds_add_u32 v71, v70
.LBB16_8:                               ;   in Loop: Header=BB16_2 Depth=1
	s_or_b64 exec, exec, s[6:7]
	v_cndmask_b32_e64 v70, 0, 1, s[38:39]
	v_cmp_ne_u32_e32 vcc, 0, v70
	buffer_load_dword v70, off, s[96:99], 0 offset:20 ; 4-byte Folded Reload
	buffer_load_dword v71, off, s[96:99], 0 offset:16 ; 4-byte Folded Reload
	v_readlane_b32 s6, v127, 37
	v_readlane_b32 s7, v127, 38
	v_cndmask_b32_e64 v72, 0, 1, s[6:7]
	v_readlane_b32 s6, v127, 39
	v_readlane_b32 s7, v127, 40
	s_waitcnt vmcnt(1)
	v_xor_b32_e32 v70, vcc_hi, v70
	s_waitcnt vmcnt(0)
	v_xor_b32_e32 v71, vcc_lo, v71
	v_cmp_ne_u32_e32 vcc, 0, v72
	v_and_b32_e32 v70, exec_hi, v70
	v_xor_b32_e32 v72, vcc_hi, v10
	v_and_b32_e32 v70, v70, v72
	v_cndmask_b32_e64 v72, 0, 1, s[6:7]
	v_xor_b32_e32 v73, vcc_lo, v90
	v_cmp_ne_u32_e32 vcc, 0, v72
	v_readlane_b32 s6, v127, 41
	v_xor_b32_e32 v72, vcc_hi, v8
	v_readlane_b32 s7, v127, 42
	v_and_b32_e32 v71, exec_lo, v71
	v_and_b32_e32 v70, v70, v72
	v_cndmask_b32_e64 v72, 0, 1, s[6:7]
	v_and_b32_e32 v71, v71, v73
	v_xor_b32_e32 v73, vcc_lo, v91
	v_cmp_ne_u32_e32 vcc, 0, v72
	v_readlane_b32 s6, v127, 43
	v_xor_b32_e32 v72, vcc_hi, v9
	v_readlane_b32 s7, v127, 44
	v_and_b32_e32 v70, v70, v72
	v_cndmask_b32_e64 v72, 0, 1, s[6:7]
	v_and_b32_e32 v71, v71, v73
	v_xor_b32_e32 v73, vcc_lo, v92
	v_cmp_ne_u32_e32 vcc, 0, v72
	v_readlane_b32 s6, v127, 45
	v_xor_b32_e32 v72, vcc_hi, v6
	v_readlane_b32 s7, v127, 46
	;; [unrolled: 8-line block ×5, first 2 shown]
	v_and_b32_e32 v70, v70, v72
	v_cndmask_b32_e64 v72, 0, 1, s[6:7]
	v_and_b32_e32 v71, v71, v73
	v_xor_b32_e32 v73, vcc_lo, v96
	v_cmp_ne_u32_e32 vcc, 0, v72
	v_and_b32_e32 v71, v71, v73
	v_xor_b32_e32 v73, vcc_lo, v97
	v_xor_b32_e32 v72, vcc_hi, v1
	v_and_b32_e32 v71, v71, v73
	v_and_b32_e32 v70, v70, v72
	v_mbcnt_lo_u32_b32 v72, v71, 0
	v_mbcnt_hi_u32_b32 v72, v70, v72
	v_cmp_eq_u32_e32 vcc, 0, v72
	s_and_saveexec_b64 s[6:7], vcc
	s_cbranch_execz .LBB16_10
; %bb.9:                                ;   in Loop: Header=BB16_2 Depth=1
	v_bcnt_u32_b32 v71, v71, 0
	v_bcnt_u32_b32 v70, v70, v71
	buffer_load_dword v71, off, s[96:99], 0 offset:104 ; 4-byte Folded Reload
	s_waitcnt vmcnt(0)
	ds_add_u32 v71, v70
.LBB16_10:                              ;   in Loop: Header=BB16_2 Depth=1
	s_or_b64 exec, exec, s[6:7]
	v_cndmask_b32_e64 v70, 0, 1, s[40:41]
	v_cmp_ne_u32_e32 vcc, 0, v70
	buffer_load_dword v70, off, s[96:99], 0 offset:28 ; 4-byte Folded Reload
	buffer_load_dword v71, off, s[96:99], 0 offset:24 ; 4-byte Folded Reload
	v_readlane_b32 s6, v127, 53
	v_readlane_b32 s7, v127, 54
	v_cndmask_b32_e64 v72, 0, 1, s[6:7]
	v_readlane_b32 s6, v127, 55
	v_readlane_b32 s7, v127, 56
	s_waitcnt vmcnt(1)
	v_xor_b32_e32 v70, vcc_hi, v70
	s_waitcnt vmcnt(0)
	v_xor_b32_e32 v71, vcc_lo, v71
	v_cmp_ne_u32_e32 vcc, 0, v72
	v_and_b32_e32 v70, exec_hi, v70
	v_xor_b32_e32 v72, vcc_hi, v2
	v_and_b32_e32 v70, v70, v72
	v_cndmask_b32_e64 v72, 0, 1, s[6:7]
	v_xor_b32_e32 v73, vcc_lo, v98
	v_cmp_ne_u32_e32 vcc, 0, v72
	v_readlane_b32 s6, v127, 57
	v_xor_b32_e32 v72, vcc_hi, v43
	v_readlane_b32 s7, v127, 58
	v_and_b32_e32 v71, exec_lo, v71
	v_and_b32_e32 v70, v70, v72
	v_cndmask_b32_e64 v72, 0, 1, s[6:7]
	v_and_b32_e32 v71, v71, v73
	v_xor_b32_e32 v73, vcc_lo, v99
	v_cmp_ne_u32_e32 vcc, 0, v72
	v_xor_b32_e32 v72, vcc_hi, v116
	v_and_b32_e32 v70, v70, v72
	v_cndmask_b32_e64 v72, 0, 1, s[54:55]
	v_and_b32_e32 v71, v71, v73
	v_xor_b32_e32 v73, vcc_lo, v100
	v_cmp_ne_u32_e32 vcc, 0, v72
	v_xor_b32_e32 v72, vcc_hi, v117
	v_and_b32_e32 v70, v70, v72
	v_cndmask_b32_e64 v72, 0, 1, s[56:57]
	v_and_b32_e32 v71, v71, v73
	v_xor_b32_e32 v73, vcc_lo, v101
	v_cmp_ne_u32_e32 vcc, 0, v72
	v_xor_b32_e32 v72, vcc_hi, v118
	v_and_b32_e32 v70, v70, v72
	v_cndmask_b32_e64 v72, 0, 1, s[58:59]
	v_and_b32_e32 v71, v71, v73
	v_xor_b32_e32 v73, vcc_lo, v102
	v_cmp_ne_u32_e32 vcc, 0, v72
	v_xor_b32_e32 v72, vcc_hi, v119
	v_and_b32_e32 v70, v70, v72
	v_cndmask_b32_e64 v72, 0, 1, s[60:61]
	v_and_b32_e32 v71, v71, v73
	v_xor_b32_e32 v73, vcc_lo, v103
	v_cmp_ne_u32_e32 vcc, 0, v72
	v_xor_b32_e32 v72, vcc_hi, v120
	v_and_b32_e32 v70, v70, v72
	v_cndmask_b32_e64 v72, 0, 1, s[62:63]
	v_and_b32_e32 v71, v71, v73
	v_xor_b32_e32 v73, vcc_lo, v74
	v_cmp_ne_u32_e32 vcc, 0, v72
	v_and_b32_e32 v71, v71, v73
	v_xor_b32_e32 v73, vcc_lo, v42
	v_xor_b32_e32 v72, vcc_hi, v121
	v_and_b32_e32 v71, v71, v73
	v_and_b32_e32 v70, v70, v72
	v_mbcnt_lo_u32_b32 v72, v71, 0
	v_mbcnt_hi_u32_b32 v72, v70, v72
	v_cmp_eq_u32_e32 vcc, 0, v72
	s_and_saveexec_b64 s[6:7], vcc
	s_cbranch_execz .LBB16_12
; %bb.11:                               ;   in Loop: Header=BB16_2 Depth=1
	v_bcnt_u32_b32 v71, v71, 0
	v_bcnt_u32_b32 v70, v70, v71
	buffer_load_dword v71, off, s[96:99], 0 offset:108 ; 4-byte Folded Reload
	s_waitcnt vmcnt(0)
	ds_add_u32 v71, v70
.LBB16_12:                              ;   in Loop: Header=BB16_2 Depth=1
	s_or_b64 exec, exec, s[6:7]
	v_cndmask_b32_e64 v70, 0, 1, s[42:43]
	v_cmp_ne_u32_e32 vcc, 0, v70
	buffer_load_dword v70, off, s[96:99], 0 offset:36 ; 4-byte Folded Reload
	buffer_load_dword v71, off, s[96:99], 0 offset:32 ; 4-byte Folded Reload
	v_cndmask_b32_e64 v72, 0, 1, s[64:65]
	s_waitcnt vmcnt(1)
	v_xor_b32_e32 v70, vcc_hi, v70
	s_waitcnt vmcnt(0)
	v_xor_b32_e32 v71, vcc_lo, v71
	v_cmp_ne_u32_e32 vcc, 0, v72
	v_and_b32_e32 v70, exec_hi, v70
	v_xor_b32_e32 v72, vcc_hi, v122
	v_and_b32_e32 v70, v70, v72
	v_cndmask_b32_e64 v72, 0, 1, s[66:67]
	v_xor_b32_e32 v73, vcc_lo, v104
	v_cmp_ne_u32_e32 vcc, 0, v72
	v_xor_b32_e32 v72, vcc_hi, v123
	v_and_b32_e32 v71, exec_lo, v71
	v_and_b32_e32 v70, v70, v72
	v_cndmask_b32_e64 v72, 0, 1, s[68:69]
	v_and_b32_e32 v71, v71, v73
	v_xor_b32_e32 v73, vcc_lo, v54
	v_cmp_ne_u32_e32 vcc, 0, v72
	v_xor_b32_e32 v72, vcc_hi, v124
	v_and_b32_e32 v70, v70, v72
	v_cndmask_b32_e64 v72, 0, 1, s[70:71]
	v_and_b32_e32 v71, v71, v73
	v_xor_b32_e32 v73, vcc_lo, v0
	v_cmp_ne_u32_e32 vcc, 0, v72
	v_xor_b32_e32 v72, vcc_hi, v125
	;; [unrolled: 6-line block ×5, first 2 shown]
	v_and_b32_e32 v70, v70, v72
	v_cndmask_b32_e64 v72, 0, 1, s[78:79]
	v_and_b32_e32 v71, v71, v73
	v_xor_b32_e32 v73, vcc_lo, v76
	v_cmp_ne_u32_e32 vcc, 0, v72
	v_and_b32_e32 v71, v71, v73
	v_xor_b32_e32 v73, vcc_lo, v38
	v_xor_b32_e32 v72, vcc_hi, v107
	v_and_b32_e32 v71, v71, v73
	v_and_b32_e32 v70, v70, v72
	v_mbcnt_lo_u32_b32 v72, v71, 0
	v_mbcnt_hi_u32_b32 v72, v70, v72
	v_cmp_eq_u32_e32 vcc, 0, v72
	s_and_saveexec_b64 s[6:7], vcc
	s_cbranch_execz .LBB16_14
; %bb.13:                               ;   in Loop: Header=BB16_2 Depth=1
	v_bcnt_u32_b32 v71, v71, 0
	v_bcnt_u32_b32 v70, v70, v71
	buffer_load_dword v71, off, s[96:99], 0 offset:112 ; 4-byte Folded Reload
	s_waitcnt vmcnt(0)
	ds_add_u32 v71, v70
.LBB16_14:                              ;   in Loop: Header=BB16_2 Depth=1
	s_or_b64 exec, exec, s[6:7]
	v_cndmask_b32_e64 v70, 0, 1, s[44:45]
	v_cmp_ne_u32_e32 vcc, 0, v70
	buffer_load_dword v70, off, s[96:99], 0 offset:44 ; 4-byte Folded Reload
	buffer_load_dword v71, off, s[96:99], 0 offset:40 ; 4-byte Folded Reload
	v_cndmask_b32_e64 v72, 0, 1, s[80:81]
	s_waitcnt vmcnt(1)
	v_xor_b32_e32 v70, vcc_hi, v70
	s_waitcnt vmcnt(0)
	v_xor_b32_e32 v71, vcc_lo, v71
	v_cmp_ne_u32_e32 vcc, 0, v72
	v_and_b32_e32 v70, exec_hi, v70
	v_xor_b32_e32 v72, vcc_hi, v11
	v_and_b32_e32 v70, v70, v72
	v_cndmask_b32_e64 v72, 0, 1, s[82:83]
	v_xor_b32_e32 v73, vcc_lo, v56
	v_cmp_ne_u32_e32 vcc, 0, v72
	v_xor_b32_e32 v72, vcc_hi, v13
	v_and_b32_e32 v71, exec_lo, v71
	v_and_b32_e32 v70, v70, v72
	v_cndmask_b32_e64 v72, 0, 1, s[84:85]
	v_and_b32_e32 v71, v71, v73
	v_xor_b32_e32 v73, vcc_lo, v58
	v_cmp_ne_u32_e32 vcc, 0, v72
	v_xor_b32_e32 v72, vcc_hi, v15
	v_and_b32_e32 v70, v70, v72
	v_cndmask_b32_e64 v72, 0, 1, s[86:87]
	v_and_b32_e32 v71, v71, v73
	v_xor_b32_e32 v73, vcc_lo, v59
	v_cmp_ne_u32_e32 vcc, 0, v72
	v_xor_b32_e32 v72, vcc_hi, v17
	;; [unrolled: 6-line block ×5, first 2 shown]
	v_and_b32_e32 v70, v70, v72
	v_cndmask_b32_e64 v72, 0, 1, s[94:95]
	v_and_b32_e32 v71, v71, v73
	v_xor_b32_e32 v73, vcc_lo, v62
	v_cmp_ne_u32_e32 vcc, 0, v72
	v_and_b32_e32 v71, v71, v73
	v_xor_b32_e32 v73, vcc_lo, v63
	v_xor_b32_e32 v72, vcc_hi, v25
	v_and_b32_e32 v71, v71, v73
	v_and_b32_e32 v70, v70, v72
	v_mbcnt_lo_u32_b32 v72, v71, 0
	v_mbcnt_hi_u32_b32 v72, v70, v72
	v_cmp_eq_u32_e32 vcc, 0, v72
	s_and_saveexec_b64 s[6:7], vcc
	s_cbranch_execz .LBB16_16
; %bb.15:                               ;   in Loop: Header=BB16_2 Depth=1
	v_bcnt_u32_b32 v71, v71, 0
	v_bcnt_u32_b32 v70, v70, v71
	buffer_load_dword v71, off, s[96:99], 0 offset:116 ; 4-byte Folded Reload
	s_waitcnt vmcnt(0)
	ds_add_u32 v71, v70
.LBB16_16:                              ;   in Loop: Header=BB16_2 Depth=1
	s_or_b64 exec, exec, s[6:7]
	v_cndmask_b32_e64 v70, 0, 1, s[46:47]
	v_cmp_ne_u32_e32 vcc, 0, v70
	buffer_load_dword v70, off, s[96:99], 0 offset:52 ; 4-byte Folded Reload
	buffer_load_dword v71, off, s[96:99], 0 offset:48 ; 4-byte Folded Reload
	v_cndmask_b32_e64 v72, 0, 1, s[0:1]
	s_waitcnt vmcnt(1)
	v_xor_b32_e32 v70, vcc_hi, v70
	s_waitcnt vmcnt(0)
	v_xor_b32_e32 v71, vcc_lo, v71
	v_cmp_ne_u32_e32 vcc, 0, v72
	v_and_b32_e32 v70, exec_hi, v70
	v_xor_b32_e32 v72, vcc_hi, v27
	v_and_b32_e32 v70, v70, v72
	v_cndmask_b32_e64 v72, 0, 1, s[2:3]
	v_xor_b32_e32 v73, vcc_lo, v64
	v_cmp_ne_u32_e32 vcc, 0, v72
	v_xor_b32_e32 v72, vcc_hi, v29
	v_and_b32_e32 v71, exec_lo, v71
	v_and_b32_e32 v70, v70, v72
	v_cndmask_b32_e64 v72, 0, 1, s[4:5]
	v_and_b32_e32 v71, v71, v73
	v_xor_b32_e32 v73, vcc_lo, v65
	v_cmp_ne_u32_e32 vcc, 0, v72
	v_xor_b32_e32 v72, vcc_hi, v31
	v_and_b32_e32 v70, v70, v72
	v_cndmask_b32_e64 v72, 0, 1, s[50:51]
	v_and_b32_e32 v71, v71, v73
	v_xor_b32_e32 v73, vcc_lo, v66
	v_cmp_ne_u32_e32 vcc, 0, v72
	v_xor_b32_e32 v72, vcc_hi, v33
	;; [unrolled: 6-line block ×5, first 2 shown]
	v_and_b32_e32 v70, v70, v72
	v_cndmask_b32_e64 v72, 0, 1, s[14:15]
	v_and_b32_e32 v71, v71, v73
	v_xor_b32_e32 v73, vcc_lo, v50
	v_cmp_ne_u32_e32 vcc, 0, v72
	v_and_b32_e32 v71, v71, v73
	v_xor_b32_e32 v73, vcc_lo, v51
	v_xor_b32_e32 v72, vcc_hi, v41
	v_and_b32_e32 v71, v71, v73
	v_and_b32_e32 v70, v70, v72
	v_mbcnt_lo_u32_b32 v72, v71, 0
	v_mbcnt_hi_u32_b32 v72, v70, v72
	v_cmp_eq_u32_e32 vcc, 0, v72
	s_and_saveexec_b64 s[6:7], vcc
	s_cbranch_execz .LBB16_18
; %bb.17:                               ;   in Loop: Header=BB16_2 Depth=1
	v_bcnt_u32_b32 v71, v71, 0
	v_bcnt_u32_b32 v70, v70, v71
	buffer_load_dword v71, off, s[96:99], 0 offset:120 ; 4-byte Folded Reload
	s_waitcnt vmcnt(0)
	ds_add_u32 v71, v70
.LBB16_18:                              ;   in Loop: Header=BB16_2 Depth=1
	s_or_b64 exec, exec, s[6:7]
	v_cndmask_b32_e64 v70, 0, 1, s[48:49]
	v_cmp_ne_u32_e32 vcc, 0, v70
	buffer_load_dword v70, off, s[96:99], 0 offset:60 ; 4-byte Folded Reload
	buffer_load_dword v71, off, s[96:99], 0 offset:56 ; 4-byte Folded Reload
	v_cndmask_b32_e64 v72, 0, 1, s[16:17]
	s_waitcnt vmcnt(1)
	v_xor_b32_e32 v70, vcc_hi, v70
	s_waitcnt vmcnt(0)
	v_xor_b32_e32 v71, vcc_lo, v71
	v_cmp_ne_u32_e32 vcc, 0, v72
	v_and_b32_e32 v70, exec_hi, v70
	v_xor_b32_e32 v72, vcc_hi, v108
	v_and_b32_e32 v70, v70, v72
	v_cndmask_b32_e64 v72, 0, 1, s[18:19]
	v_xor_b32_e32 v73, vcc_lo, v46
	v_cmp_ne_u32_e32 vcc, 0, v72
	v_xor_b32_e32 v72, vcc_hi, v109
	v_and_b32_e32 v71, exec_lo, v71
	v_and_b32_e32 v70, v70, v72
	v_cndmask_b32_e64 v72, 0, 1, s[20:21]
	v_and_b32_e32 v71, v71, v73
	v_xor_b32_e32 v73, vcc_lo, v47
	v_cmp_ne_u32_e32 vcc, 0, v72
	v_xor_b32_e32 v72, vcc_hi, v110
	v_and_b32_e32 v70, v70, v72
	v_cndmask_b32_e64 v72, 0, 1, s[22:23]
	v_and_b32_e32 v71, v71, v73
	v_xor_b32_e32 v73, vcc_lo, v48
	v_cmp_ne_u32_e32 vcc, 0, v72
	v_xor_b32_e32 v72, vcc_hi, v111
	v_and_b32_e32 v70, v70, v72
	v_cndmask_b32_e64 v72, 0, 1, s[24:25]
	v_and_b32_e32 v71, v71, v73
	v_xor_b32_e32 v73, vcc_lo, v49
	v_cmp_ne_u32_e32 vcc, 0, v72
	v_xor_b32_e32 v72, vcc_hi, v112
	v_and_b32_e32 v70, v70, v72
	v_cndmask_b32_e64 v72, 0, 1, s[26:27]
	v_and_b32_e32 v71, v71, v73
	v_xor_b32_e32 v73, vcc_lo, v52
	v_cmp_ne_u32_e32 vcc, 0, v72
	v_xor_b32_e32 v72, vcc_hi, v113
	v_and_b32_e32 v70, v70, v72
	v_cndmask_b32_e64 v72, 0, 1, s[28:29]
	v_and_b32_e32 v71, v71, v73
	v_xor_b32_e32 v73, vcc_lo, v53
	v_cmp_ne_u32_e32 vcc, 0, v72
	v_xor_b32_e32 v72, vcc_hi, v114
	v_and_b32_e32 v70, v70, v72
	v_cndmask_b32_e64 v72, 0, 1, s[30:31]
	v_and_b32_e32 v71, v71, v73
	v_xor_b32_e32 v73, vcc_lo, v44
	v_cmp_ne_u32_e32 vcc, 0, v72
	v_and_b32_e32 v71, v71, v73
	v_xor_b32_e32 v73, vcc_lo, v45
	v_xor_b32_e32 v72, vcc_hi, v115
	v_and_b32_e32 v71, v71, v73
	v_and_b32_e32 v70, v70, v72
	v_mbcnt_lo_u32_b32 v72, v71, 0
	v_mbcnt_hi_u32_b32 v72, v70, v72
	v_cmp_eq_u32_e32 vcc, 0, v72
	s_and_saveexec_b64 s[6:7], vcc
	s_cbranch_execz .LBB16_1
; %bb.19:                               ;   in Loop: Header=BB16_2 Depth=1
	v_bcnt_u32_b32 v71, v71, 0
	v_bcnt_u32_b32 v70, v70, v71
	buffer_load_dword v71, off, s[96:99], 0 offset:124 ; 4-byte Folded Reload
	s_waitcnt vmcnt(0)
	ds_add_u32 v71, v70
	s_branch .LBB16_1
.LBB16_20:
	s_and_saveexec_b64 s[0:1], s[52:53]
	s_cbranch_execz .LBB16_22
; %bb.21:
	buffer_load_dword v0, off, s[96:99], 0 offset:128 ; 4-byte Folded Reload
	buffer_load_dword v3, off, s[96:99], 0 offset:92 ; 4-byte Folded Reload
	v_readlane_b32 s0, v127, 0
	v_mov_b32_e32 v1, 0
	s_waitcnt vmcnt(1)
	v_lshl_or_b32 v0, s0, 9, v0
	s_waitcnt vmcnt(0)
	ds_read_b32 v3, v3
	v_lshlrev_b64 v[0:1], 2, v[0:1]
	v_readlane_b32 s0, v127, 1
	v_readlane_b32 s2, v127, 3
	;; [unrolled: 1-line block ×3, first 2 shown]
	v_mov_b32_e32 v2, s3
	v_add_co_u32_e32 v0, vcc, s2, v0
	v_addc_co_u32_e32 v1, vcc, v2, v1, vcc
	v_readlane_b32 s1, v127, 2
	s_waitcnt lgkmcnt(0)
	global_store_dword v[0:1], v3, off
.LBB16_22:
	s_endpgm
	.section	.rodata,"a",@progbits
	.p2align	6, 0x0
	.amdhsa_kernel _Z6kernelI9histogramILN6hipcub23BlockHistogramAlgorithmE0EEiLj512ELj8ELj512ELj100EEvPKT0_PS4_
		.amdhsa_group_segment_fixed_size 2048
		.amdhsa_private_segment_fixed_size 152
		.amdhsa_kernarg_size 16
		.amdhsa_user_sgpr_count 6
		.amdhsa_user_sgpr_private_segment_buffer 1
		.amdhsa_user_sgpr_dispatch_ptr 0
		.amdhsa_user_sgpr_queue_ptr 0
		.amdhsa_user_sgpr_kernarg_segment_ptr 1
		.amdhsa_user_sgpr_dispatch_id 0
		.amdhsa_user_sgpr_flat_scratch_init 0
		.amdhsa_user_sgpr_private_segment_size 0
		.amdhsa_uses_dynamic_stack 0
		.amdhsa_system_sgpr_private_segment_wavefront_offset 1
		.amdhsa_system_sgpr_workgroup_id_x 1
		.amdhsa_system_sgpr_workgroup_id_y 0
		.amdhsa_system_sgpr_workgroup_id_z 0
		.amdhsa_system_sgpr_workgroup_info 0
		.amdhsa_system_vgpr_workitem_id 0
		.amdhsa_next_free_vgpr 128
		.amdhsa_next_free_sgpr 100
		.amdhsa_reserve_vcc 1
		.amdhsa_reserve_flat_scratch 0
		.amdhsa_float_round_mode_32 0
		.amdhsa_float_round_mode_16_64 0
		.amdhsa_float_denorm_mode_32 3
		.amdhsa_float_denorm_mode_16_64 3
		.amdhsa_dx10_clamp 1
		.amdhsa_ieee_mode 1
		.amdhsa_fp16_overflow 0
		.amdhsa_exception_fp_ieee_invalid_op 0
		.amdhsa_exception_fp_denorm_src 0
		.amdhsa_exception_fp_ieee_div_zero 0
		.amdhsa_exception_fp_ieee_overflow 0
		.amdhsa_exception_fp_ieee_underflow 0
		.amdhsa_exception_fp_ieee_inexact 0
		.amdhsa_exception_int_div_zero 0
	.end_amdhsa_kernel
	.section	.text._Z6kernelI9histogramILN6hipcub23BlockHistogramAlgorithmE0EEiLj512ELj8ELj512ELj100EEvPKT0_PS4_,"axG",@progbits,_Z6kernelI9histogramILN6hipcub23BlockHistogramAlgorithmE0EEiLj512ELj8ELj512ELj100EEvPKT0_PS4_,comdat
.Lfunc_end16:
	.size	_Z6kernelI9histogramILN6hipcub23BlockHistogramAlgorithmE0EEiLj512ELj8ELj512ELj100EEvPKT0_PS4_, .Lfunc_end16-_Z6kernelI9histogramILN6hipcub23BlockHistogramAlgorithmE0EEiLj512ELj8ELj512ELj100EEvPKT0_PS4_
                                        ; -- End function
	.set _Z6kernelI9histogramILN6hipcub23BlockHistogramAlgorithmE0EEiLj512ELj8ELj512ELj100EEvPKT0_PS4_.num_vgpr, 128
	.set _Z6kernelI9histogramILN6hipcub23BlockHistogramAlgorithmE0EEiLj512ELj8ELj512ELj100EEvPKT0_PS4_.num_agpr, 0
	.set _Z6kernelI9histogramILN6hipcub23BlockHistogramAlgorithmE0EEiLj512ELj8ELj512ELj100EEvPKT0_PS4_.numbered_sgpr, 100
	.set _Z6kernelI9histogramILN6hipcub23BlockHistogramAlgorithmE0EEiLj512ELj8ELj512ELj100EEvPKT0_PS4_.num_named_barrier, 0
	.set _Z6kernelI9histogramILN6hipcub23BlockHistogramAlgorithmE0EEiLj512ELj8ELj512ELj100EEvPKT0_PS4_.private_seg_size, 152
	.set _Z6kernelI9histogramILN6hipcub23BlockHistogramAlgorithmE0EEiLj512ELj8ELj512ELj100EEvPKT0_PS4_.uses_vcc, 1
	.set _Z6kernelI9histogramILN6hipcub23BlockHistogramAlgorithmE0EEiLj512ELj8ELj512ELj100EEvPKT0_PS4_.uses_flat_scratch, 0
	.set _Z6kernelI9histogramILN6hipcub23BlockHistogramAlgorithmE0EEiLj512ELj8ELj512ELj100EEvPKT0_PS4_.has_dyn_sized_stack, 0
	.set _Z6kernelI9histogramILN6hipcub23BlockHistogramAlgorithmE0EEiLj512ELj8ELj512ELj100EEvPKT0_PS4_.has_recursion, 0
	.set _Z6kernelI9histogramILN6hipcub23BlockHistogramAlgorithmE0EEiLj512ELj8ELj512ELj100EEvPKT0_PS4_.has_indirect_call, 0
	.section	.AMDGPU.csdata,"",@progbits
; Kernel info:
; codeLenInByte = 6556
; TotalNumSgprs: 104
; NumVgprs: 128
; ScratchSize: 152
; MemoryBound: 0
; FloatMode: 240
; IeeeMode: 1
; LDSByteSize: 2048 bytes/workgroup (compile time only)
; SGPRBlocks: 12
; VGPRBlocks: 31
; NumSGPRsForWavesPerEU: 104
; NumVGPRsForWavesPerEU: 128
; Occupancy: 2
; WaveLimiterHint : 0
; COMPUTE_PGM_RSRC2:SCRATCH_EN: 1
; COMPUTE_PGM_RSRC2:USER_SGPR: 6
; COMPUTE_PGM_RSRC2:TRAP_HANDLER: 0
; COMPUTE_PGM_RSRC2:TGID_X_EN: 1
; COMPUTE_PGM_RSRC2:TGID_Y_EN: 0
; COMPUTE_PGM_RSRC2:TGID_Z_EN: 0
; COMPUTE_PGM_RSRC2:TIDIG_COMP_CNT: 0
	.section	.text._Z6kernelI9histogramILN6hipcub23BlockHistogramAlgorithmE0EEiLj512ELj16ELj512ELj100EEvPKT0_PS4_,"axG",@progbits,_Z6kernelI9histogramILN6hipcub23BlockHistogramAlgorithmE0EEiLj512ELj16ELj512ELj100EEvPKT0_PS4_,comdat
	.protected	_Z6kernelI9histogramILN6hipcub23BlockHistogramAlgorithmE0EEiLj512ELj16ELj512ELj100EEvPKT0_PS4_ ; -- Begin function _Z6kernelI9histogramILN6hipcub23BlockHistogramAlgorithmE0EEiLj512ELj16ELj512ELj100EEvPKT0_PS4_
	.globl	_Z6kernelI9histogramILN6hipcub23BlockHistogramAlgorithmE0EEiLj512ELj16ELj512ELj100EEvPKT0_PS4_
	.p2align	8
	.type	_Z6kernelI9histogramILN6hipcub23BlockHistogramAlgorithmE0EEiLj512ELj16ELj512ELj100EEvPKT0_PS4_,@function
_Z6kernelI9histogramILN6hipcub23BlockHistogramAlgorithmE0EEiLj512ELj16ELj512ELj100EEvPKT0_PS4_: ; @_Z6kernelI9histogramILN6hipcub23BlockHistogramAlgorithmE0EEiLj512ELj16ELj512ELj100EEvPKT0_PS4_
; %bb.0:
	s_mov_b64 s[98:99], s[2:3]
	s_mov_b64 s[96:97], s[0:1]
	s_load_dwordx4 s[0:3], s[4:5], 0x0
	s_add_u32 s96, s96, s7
	v_lshlrev_b32_e32 v1, 4, v0
	s_addc_u32 s97, s97, 0
	v_lshl_or_b32 v91, s6, 13, v1
	v_mov_b32_e32 v92, 0
	buffer_store_dword v0, off, s[96:99], 0 offset:784 ; 4-byte Folded Spill
                                        ; implicit-def: $vgpr124 : SGPR spill to VGPR lane
	v_lshlrev_b64 v[0:1], 2, v[91:92]
	v_writelane_b32 v124, s6, 0
	s_waitcnt lgkmcnt(0)
	v_mov_b32_e32 v2, s1
	v_writelane_b32 v124, s0, 1
	v_add_co_u32_e32 v66, vcc, s0, v0
	v_addc_co_u32_e32 v67, vcc, v2, v1, vcc
	global_load_dwordx4 v[1:4], v[66:67], off
	global_load_dwordx4 v[5:8], v[66:67], off offset:16
	v_writelane_b32 v124, s1, 2
	v_writelane_b32 v124, s2, 3
	v_mov_b32_e32 v14, v92
	v_writelane_b32 v124, s3, 4
                                        ; implicit-def: $vgpr125 : SGPR spill to VGPR lane
	v_mov_b32_e32 v121, v92
                                        ; implicit-def: $vgpr126 : SGPR spill to VGPR lane
                                        ; implicit-def: $vgpr127 : SGPR spill to VGPR lane
	s_movk_i32 s33, 0x64
	s_waitcnt vmcnt(1)
	v_and_b32_e32 v0, 1, v1
	buffer_store_dword v0, off, s[96:99], 0 ; 4-byte Folded Spill
	v_lshlrev_b32_e32 v0, 2, v1
	buffer_store_dword v0, off, s[96:99], 0 offset:720 ; 4-byte Folded Spill
	v_and_b32_e32 v0, 1, v2
	buffer_store_dword v0, off, s[96:99], 0 offset:12 ; 4-byte Folded Spill
	v_lshlrev_b32_e32 v0, 2, v2
	buffer_store_dword v0, off, s[96:99], 0 offset:724 ; 4-byte Folded Spill
	v_and_b32_e32 v0, 1, v3
	buffer_store_dword v0, off, s[96:99], 0 offset:4 ; 4-byte Folded Spill
	;; [unrolled: 4-line block ×3, first 2 shown]
	v_lshlrev_b32_e32 v0, 2, v4
	buffer_store_dword v0, off, s[96:99], 0 offset:732 ; 4-byte Folded Spill
	s_waitcnt vmcnt(8)
	v_and_b32_e32 v0, 1, v5
	buffer_store_dword v0, off, s[96:99], 0 offset:16 ; 4-byte Folded Spill
	v_lshlrev_b32_e32 v0, 2, v5
	buffer_store_dword v0, off, s[96:99], 0 offset:736 ; 4-byte Folded Spill
	v_and_b32_e32 v0, 1, v6
	buffer_store_dword v0, off, s[96:99], 0 offset:20 ; 4-byte Folded Spill
	v_lshlrev_b32_e32 v0, 2, v6
	buffer_store_dword v0, off, s[96:99], 0 offset:740 ; 4-byte Folded Spill
	;; [unrolled: 4-line block ×3, first 2 shown]
	v_and_b32_e32 v0, 1, v8
	v_lshlrev_b32_e32 v15, 30, v1
	v_lshlrev_b32_e32 v16, 29, v1
	;; [unrolled: 1-line block ×8, first 2 shown]
	buffer_store_dword v0, off, s[96:99], 0 offset:28 ; 4-byte Folded Spill
	v_lshlrev_b32_e32 v0, 2, v8
	v_lshlrev_b32_e32 v1, 29, v5
	buffer_store_dword v0, off, s[96:99], 0 offset:748 ; 4-byte Folded Spill
	buffer_store_dword v0, off, s[96:99], 0 offset:136 ; 4-byte Folded Spill
	s_nop 0
	buffer_store_dword v1, off, s[96:99], 0 offset:140 ; 4-byte Folded Spill
	v_lshlrev_b32_e32 v1, 28, v5
	v_lshlrev_b32_e32 v22, 30, v2
	;; [unrolled: 1-line block ×44, first 2 shown]
	buffer_store_dword v0, off, s[96:99], 0 offset:128 ; 4-byte Folded Spill
	s_nop 0
	buffer_store_dword v1, off, s[96:99], 0 offset:132 ; 4-byte Folded Spill
	v_lshlrev_b32_e32 v1, 27, v5
	v_lshlrev_b32_e32 v60, 25, v8
	;; [unrolled: 1-line block ×4, first 2 shown]
	v_cmp_gt_i64_e64 s[0:1], 0, v[14:15]
	v_mov_b32_e32 v14, v54
	v_writelane_b32 v124, s0, 5
	v_writelane_b32 v124, s1, 6
	v_mov_b32_e32 v54, v92
	buffer_store_dword v0, off, s[96:99], 0 offset:120 ; 4-byte Folded Spill
	s_nop 0
	buffer_store_dword v1, off, s[96:99], 0 offset:124 ; 4-byte Folded Spill
	v_lshlrev_b32_e32 v1, 26, v5
	buffer_store_dword v0, off, s[96:99], 0 offset:112 ; 4-byte Folded Spill
	s_nop 0
	buffer_store_dword v1, off, s[96:99], 0 offset:116 ; 4-byte Folded Spill
	v_lshlrev_b32_e32 v1, 25, v5
	;; [unrolled: 4-line block ×7, first 2 shown]
	buffer_store_dword v0, off, s[96:99], 0 offset:64 ; 4-byte Folded Spill
	s_nop 0
	buffer_store_dword v1, off, s[96:99], 0 offset:68 ; 4-byte Folded Spill
	global_load_dwordx4 v[1:4], v[66:67], off offset:32
	s_nop 0
	global_load_dwordx4 v[5:8], v[66:67], off offset:48
	v_mov_b32_e32 v66, v92
	s_waitcnt vmcnt(1)
	v_and_b32_e32 v0, 1, v1
	buffer_store_dword v0, off, s[96:99], 0 offset:32 ; 4-byte Folded Spill
	v_lshlrev_b32_e32 v0, 2, v1
	buffer_store_dword v0, off, s[96:99], 0 offset:752 ; 4-byte Folded Spill
	v_and_b32_e32 v0, 1, v2
	buffer_store_dword v0, off, s[96:99], 0 offset:36 ; 4-byte Folded Spill
	v_lshlrev_b32_e32 v0, 2, v2
	buffer_store_dword v0, off, s[96:99], 0 offset:756 ; 4-byte Folded Spill
	;; [unrolled: 4-line block ×4, first 2 shown]
	s_waitcnt vmcnt(8)
	v_and_b32_e32 v0, 1, v5
	buffer_store_dword v0, off, s[96:99], 0 offset:48 ; 4-byte Folded Spill
	v_lshlrev_b32_e32 v0, 2, v5
	buffer_store_dword v0, off, s[96:99], 0 offset:768 ; 4-byte Folded Spill
	v_and_b32_e32 v0, 1, v6
	buffer_store_dword v0, off, s[96:99], 0 offset:52 ; 4-byte Folded Spill
	v_lshlrev_b32_e32 v0, 2, v6
	buffer_store_dword v0, off, s[96:99], 0 offset:772 ; 4-byte Folded Spill
	;; [unrolled: 4-line block ×4, first 2 shown]
	v_not_b32_e32 v0, v15
	v_mov_b32_e32 v15, v92
	v_cmp_gt_i64_e64 s[0:1], 0, v[15:16]
	buffer_store_dword v0, off, s[96:99], 0 offset:144 ; 4-byte Folded Spill
	v_writelane_b32 v124, s0, 7
	v_not_b32_e32 v0, v16
	v_mov_b32_e32 v16, v52
	v_writelane_b32 v124, s1, 8
	v_cmp_gt_i64_e64 s[0:1], 0, v[15:16]
	buffer_store_dword v0, off, s[96:99], 0 offset:148 ; 4-byte Folded Spill
	v_writelane_b32 v124, s0, 9
	v_not_b32_e32 v0, v16
	v_mov_b32_e32 v16, v92
	v_writelane_b32 v124, s1, 10
	;; [unrolled: 6-line block ×9, first 2 shown]
	v_cmp_gt_i64_e64 s[0:1], 0, v[23:24]
	v_mov_b32_e32 v23, v40
	v_writelane_b32 v124, s0, 25
	v_writelane_b32 v124, s1, 26
	v_cmp_gt_i64_e64 s[0:1], 0, v[22:23]
	buffer_store_dword v0, off, s[96:99], 0 offset:180 ; 4-byte Folded Spill
	v_not_b32_e32 v0, v24
	v_writelane_b32 v124, s0, 27
	v_mov_b32_e32 v24, v92
	v_writelane_b32 v124, s1, 28
	v_cmp_gt_i64_e64 s[0:1], 0, v[24:25]
	buffer_store_dword v0, off, s[96:99], 0 offset:184 ; 4-byte Folded Spill
	v_not_b32_e32 v0, v23
	buffer_store_dword v0, off, s[96:99], 0 offset:188 ; 4-byte Folded Spill
	v_writelane_b32 v124, s0, 29
	v_not_b32_e32 v0, v25
	v_mov_b32_e32 v25, v92
	v_writelane_b32 v124, s1, 30
	v_cmp_gt_i64_e64 s[0:1], 0, v[25:26]
	buffer_store_dword v0, off, s[96:99], 0 offset:192 ; 4-byte Folded Spill
	v_writelane_b32 v124, s0, 31
	v_not_b32_e32 v0, v26
	v_mov_b32_e32 v26, v92
	v_writelane_b32 v124, s1, 32
	v_cmp_gt_i64_e64 s[0:1], 0, v[26:27]
	buffer_store_dword v0, off, s[96:99], 0 offset:196 ; 4-byte Folded Spill
	v_writelane_b32 v124, s0, 33
	v_not_b32_e32 v0, v27
	v_mov_b32_e32 v27, v92
	v_writelane_b32 v124, s1, 34
	v_cmp_gt_i64_e64 s[0:1], 0, v[27:28]
	buffer_store_dword v0, off, s[96:99], 0 offset:200 ; 4-byte Folded Spill
	v_writelane_b32 v124, s0, 35
	v_not_b32_e32 v0, v28
	v_mov_b32_e32 v28, v92
	v_writelane_b32 v124, s1, 36
	v_cmp_gt_i64_e64 s[0:1], 0, v[28:29]
	v_lshlrev_b32_e32 v63, 30, v8
	v_lshlrev_b32_e32 v65, 29, v8
	;; [unrolled: 1-line block ×8, first 2 shown]
	v_writelane_b32 v124, s0, 37
	v_mov_b32_e32 v8, v92
	v_writelane_b32 v124, s1, 38
	v_cmp_gt_i64_e64 s[0:1], 0, v[8:9]
	buffer_store_dword v0, off, s[96:99], 0 offset:204 ; 4-byte Folded Spill
	v_not_b32_e32 v0, v29
	buffer_store_dword v0, off, s[96:99], 0 offset:208 ; 4-byte Folded Spill
	v_writelane_b32 v124, s0, 39
	v_not_b32_e32 v0, v9
	v_mov_b32_e32 v9, v92
	v_writelane_b32 v124, s1, 40
	v_cmp_gt_i64_e64 s[0:1], 0, v[9:10]
	buffer_store_dword v0, off, s[96:99], 0 offset:212 ; 4-byte Folded Spill
	v_writelane_b32 v124, s0, 41
	v_not_b32_e32 v0, v10
	v_mov_b32_e32 v10, v92
	v_writelane_b32 v124, s1, 42
	v_cmp_gt_i64_e64 s[0:1], 0, v[10:11]
	;; [unrolled: 6-line block ×5, first 2 shown]
	buffer_store_dword v0, off, s[96:99], 0 offset:228 ; 4-byte Folded Spill
	v_writelane_b32 v124, s0, 49
	v_not_b32_e32 v0, v14
	v_mov_b32_e32 v15, v50
	v_mov_b32_e32 v14, v92
	v_writelane_b32 v124, s1, 50
	v_cmp_gt_i64_e64 s[0:1], 0, v[14:15]
	buffer_store_dword v0, off, s[96:99], 0 offset:232 ; 4-byte Folded Spill
	v_writelane_b32 v124, s0, 51
	v_not_b32_e32 v0, v15
	v_mov_b32_e32 v16, v48
	v_mov_b32_e32 v15, v92
	v_writelane_b32 v124, s1, 52
	v_cmp_gt_i64_e64 s[0:1], 0, v[15:16]
	v_mov_b32_e32 v9, v32
	v_writelane_b32 v124, s0, 53
	v_writelane_b32 v124, s1, 54
	v_cmp_gt_i64_e64 s[0:1], 0, v[8:9]
	buffer_store_dword v0, off, s[96:99], 0 offset:236 ; 4-byte Folded Spill
	v_not_b32_e32 v0, v16
	buffer_store_dword v0, off, s[96:99], 0 offset:240 ; 4-byte Folded Spill
	v_writelane_b32 v124, s0, 55
	v_not_b32_e32 v0, v9
	v_mov_b32_e32 v10, v34
	v_mov_b32_e32 v9, v92
	v_writelane_b32 v124, s1, 56
	v_cmp_gt_i64_e64 s[0:1], 0, v[9:10]
	v_mov_b32_e32 v9, v38
	v_writelane_b32 v124, s0, 57
	v_writelane_b32 v124, s1, 58
	v_cmp_gt_i64_e64 s[0:1], 0, v[8:9]
	buffer_store_dword v0, off, s[96:99], 0 offset:244 ; 4-byte Folded Spill
	v_not_b32_e32 v0, v10
	buffer_store_dword v0, off, s[96:99], 0 offset:248 ; 4-byte Folded Spill
	v_writelane_b32 v124, s0, 59
	v_not_b32_e32 v0, v9
	v_mov_b32_e32 v9, v36
	v_writelane_b32 v124, s1, 60
	v_cmp_gt_i64_e64 s[0:1], 0, v[8:9]
	buffer_store_dword v0, off, s[96:99], 0 offset:252 ; 4-byte Folded Spill
	v_writelane_b32 v124, s0, 61
	v_not_b32_e32 v0, v9
	v_mov_b32_e32 v9, v44
	v_writelane_b32 v124, s1, 62
	v_cmp_gt_i64_e64 s[0:1], 0, v[8:9]
	buffer_store_dword v0, off, s[96:99], 0 offset:256 ; 4-byte Folded Spill
	v_writelane_b32 v124, s0, 63
	v_not_b32_e32 v0, v9
	v_mov_b32_e32 v9, v46
	v_writelane_b32 v125, s1, 0
	buffer_store_dword v0, off, s[96:99], 0 offset:260 ; 4-byte Folded Spill
	v_cmp_gt_i64_e64 s[0:1], 0, v[8:9]
	v_not_b32_e32 v0, v9
	v_mov_b32_e32 v9, v42
	buffer_store_dword v0, off, s[96:99], 0 offset:264 ; 4-byte Folded Spill
	v_not_b32_e32 v0, v9
	v_writelane_b32 v125, s0, 1
	buffer_store_dword v0, off, s[96:99], 0 offset:268 ; 4-byte Folded Spill
	v_writelane_b32 v125, s1, 2
	v_cmp_gt_i64_e64 s[0:1], 0, v[8:9]
	buffer_load_dword v8, off, s[96:99], 0 offset:136 ; 4-byte Folded Reload
	buffer_load_dword v9, off, s[96:99], 0 offset:140 ; 4-byte Folded Reload
	v_writelane_b32 v125, s0, 3
	v_writelane_b32 v125, s1, 4
	v_cmp_gt_i64_e64 s[0:1], 0, v[121:122]
	s_waitcnt vmcnt(1)
	v_mov_b32_e32 v8, v92
	v_writelane_b32 v125, s0, 5
	v_writelane_b32 v125, s1, 6
	v_lshlrev_b32_e32 v73, 30, v1
	v_lshlrev_b32_e32 v74, 29, v1
	v_lshlrev_b32_e32 v108, 28, v1
	v_lshlrev_b32_e32 v103, 27, v1
	v_lshlrev_b32_e32 v30, 26, v1
	v_mov_b32_e32 v29, v92
	v_lshlrev_b32_e32 v78, 25, v1
	v_lshlrev_b32_e32 v80, 24, v1
	;; [unrolled: 1-line block ×19, first 2 shown]
	v_cmp_gt_i64_e64 s[38:39], 0, v[54:55]
	v_lshlrev_b32_e32 v53, 30, v7
	v_mov_b32_e32 v52, v92
	v_cmp_gt_i64_e64 s[36:37], 0, v[52:53]
	v_lshlrev_b32_e32 v109, 23, v3
	v_lshlrev_b32_e32 v110, 30, v4
	;; [unrolled: 1-line block ×7, first 2 shown]
	v_not_b32_e32 v121, v122
	v_mov_b32_e32 v122, v92
	v_cmp_gt_i64_e64 s[56:57], 0, v[66:67]
	v_lshlrev_b32_e32 v119, 24, v4
	v_lshlrev_b32_e32 v120, 23, v4
	v_lshlrev_b32_e32 v1, 30, v5
	v_lshlrev_b32_e32 v3, 29, v5
	v_lshlrev_b32_e32 v4, 28, v5
	v_lshlrev_b32_e32 v31, 27, v5
	v_lshlrev_b32_e32 v33, 26, v5
	v_mov_b32_e32 v32, v92
	v_lshlrev_b32_e32 v39, 30, v6
	v_not_b32_e32 v10, v33
	v_lshlrev_b32_e32 v41, 29, v6
	v_not_b32_e32 v13, v39
	;; [unrolled: 2-line block ×4, first 2 shown]
	v_lshlrev_b32_e32 v35, 25, v5
	v_lshlrev_b32_e32 v45, 26, v6
	v_mov_b32_e32 v34, v92
	v_not_b32_e32 v16, v84
	v_lshlrev_b32_e32 v47, 25, v6
	v_not_b32_e32 v17, v45
	v_lshlrev_b32_e32 v51, 23, v6
	;; [unrolled: 2-line block ×3, first 2 shown]
	v_mov_b32_e32 v36, v92
	v_not_b32_e32 v20, v51
	v_not_b32_e32 v21, v53
	v_lshlrev_b32_e32 v57, 28, v7
	v_not_b32_e32 v22, v55
	v_lshlrev_b32_e32 v5, 23, v5
	v_lshlrev_b32_e32 v59, 27, v7
	v_not_b32_e32 v23, v57
	v_lshlrev_b32_e32 v49, 24, v6
	s_waitcnt vmcnt(0)
	v_not_b32_e32 v0, v9
	buffer_store_dword v0, off, s[96:99], 0 offset:136 ; 4-byte Folded Spill
	v_cmp_gt_i64_e64 s[0:1], 0, v[8:9]
	buffer_load_dword v8, off, s[96:99], 0 offset:128 ; 4-byte Folded Reload
	buffer_load_dword v9, off, s[96:99], 0 offset:132 ; 4-byte Folded Reload
	v_writelane_b32 v125, s0, 7
	s_waitcnt vmcnt(1)
	v_mov_b32_e32 v8, v92
	v_writelane_b32 v125, s1, 8
	v_lshlrev_b32_e32 v6, 26, v7
	v_not_b32_e32 v24, v59
	v_lshlrev_b32_e32 v61, 25, v7
	v_lshlrev_b32_e32 v113, 24, v7
	v_not_b32_e32 v25, v61
	v_lshlrev_b32_e32 v7, 23, v7
	v_not_b32_e32 v26, v113
	v_not_b32_e32 v11, v35
	;; [unrolled: 1-line block ×3, first 2 shown]
	v_mov_b32_e32 v38, v92
	v_mov_b32_e32 v40, v92
	;; [unrolled: 1-line block ×3, first 2 shown]
	v_cmp_gt_i64_e64 s[28:29], 0, v[46:47]
	v_mov_b32_e32 v48, v92
	v_cmp_gt_i64_e64 s[30:31], 0, v[48:49]
	v_mov_b32_e32 v42, v92
	v_mov_b32_e32 v44, v92
	v_not_b32_e32 v19, v49
	v_mov_b32_e32 v50, v92
	v_cmp_gt_i64_e64 s[34:35], 0, v[50:51]
	v_not_b32_e32 v27, v63
	v_not_b32_e32 v28, v65
	v_ashrrev_i32_e32 v11, 31, v11
	v_ashrrev_i32_e32 v12, 31, v12
	;; [unrolled: 1-line block ×3, first 2 shown]
	s_waitcnt vmcnt(0)
	v_not_b32_e32 v0, v9
	buffer_store_dword v0, off, s[96:99], 0 offset:128 ; 4-byte Folded Spill
	v_cmp_gt_i64_e64 s[0:1], 0, v[8:9]
	buffer_load_dword v8, off, s[96:99], 0 offset:120 ; 4-byte Folded Reload
	buffer_load_dword v9, off, s[96:99], 0 offset:124 ; 4-byte Folded Reload
	v_writelane_b32 v125, s0, 9
	s_waitcnt vmcnt(1)
	v_mov_b32_e32 v8, v92
	v_writelane_b32 v125, s1, 10
	s_waitcnt vmcnt(0)
	v_not_b32_e32 v0, v9
	buffer_store_dword v0, off, s[96:99], 0 offset:120 ; 4-byte Folded Spill
	v_cmp_gt_i64_e64 s[0:1], 0, v[8:9]
	buffer_load_dword v8, off, s[96:99], 0 offset:112 ; 4-byte Folded Reload
	buffer_load_dword v9, off, s[96:99], 0 offset:116 ; 4-byte Folded Reload
	v_writelane_b32 v125, s0, 11
	s_waitcnt vmcnt(1)
	v_mov_b32_e32 v8, v92
	v_writelane_b32 v125, s1, 12
	;; [unrolled: 10-line block ×8, first 2 shown]
	buffer_load_dword v52, off, s[96:99], 0 offset:252 ; 4-byte Folded Reload
	buffer_load_dword v54, off, s[96:99], 0 offset:256 ; 4-byte Folded Reload
	s_waitcnt vmcnt(2)
	v_cmp_gt_i64_e64 s[0:1], 0, v[8:9]
	v_not_b32_e32 v0, v9
	v_writelane_b32 v125, s0, 25
	v_mov_b32_e32 v9, v117
	v_writelane_b32 v125, s1, 26
	v_cmp_gt_i64_e64 s[0:1], 0, v[8:9]
	buffer_store_dword v0, off, s[96:99], 0 offset:64 ; 4-byte Folded Spill
	v_writelane_b32 v125, s0, 27
	v_not_b32_e32 v0, v9
	v_mov_b32_e32 v9, v115
	v_writelane_b32 v125, s1, 28
	v_cmp_gt_i64_e64 s[0:1], 0, v[8:9]
	buffer_store_dword v0, off, s[96:99], 0 offset:272 ; 4-byte Folded Spill
	v_writelane_b32 v125, s0, 29
	v_not_b32_e32 v0, v9
	v_mov_b32_e32 v9, v111
	v_writelane_b32 v125, s1, 30
	v_cmp_gt_i64_e64 s[0:1], 0, v[8:9]
	buffer_store_dword v0, off, s[96:99], 0 offset:276 ; 4-byte Folded Spill
	v_writelane_b32 v125, s0, 31
	v_not_b32_e32 v0, v9
	v_mov_b32_e32 v9, v107
	v_writelane_b32 v125, s1, 32
	v_cmp_gt_i64_e64 s[0:1], 0, v[8:9]
	buffer_store_dword v0, off, s[96:99], 0 offset:280 ; 4-byte Folded Spill
	v_writelane_b32 v125, s0, 33
	v_not_b32_e32 v0, v9
	v_mov_b32_e32 v9, v102
	v_writelane_b32 v125, s1, 34
	v_cmp_gt_i64_e64 s[0:1], 0, v[8:9]
	buffer_store_dword v0, off, s[96:99], 0 offset:284 ; 4-byte Folded Spill
	v_writelane_b32 v125, s0, 35
	v_not_b32_e32 v0, v9
	v_mov_b32_e32 v9, v95
	v_writelane_b32 v125, s1, 36
	v_cmp_gt_i64_e64 s[0:1], 0, v[8:9]
	buffer_store_dword v0, off, s[96:99], 0 offset:288 ; 4-byte Folded Spill
	v_writelane_b32 v125, s0, 37
	v_not_b32_e32 v0, v9
	v_mov_b32_e32 v9, v93
	v_writelane_b32 v125, s1, 38
	v_cmp_gt_i64_e64 s[0:1], 0, v[8:9]
	buffer_store_dword v0, off, s[96:99], 0 offset:292 ; 4-byte Folded Spill
	v_writelane_b32 v125, s0, 39
	v_not_b32_e32 v0, v9
	v_mov_b32_e32 v9, v89
	v_writelane_b32 v125, s1, 40
	v_cmp_gt_i64_e64 s[0:1], 0, v[8:9]
	buffer_store_dword v0, off, s[96:99], 0 offset:296 ; 4-byte Folded Spill
	v_writelane_b32 v125, s0, 41
	v_not_b32_e32 v0, v9
	v_mov_b32_e32 v9, v87
	v_writelane_b32 v125, s1, 42
	v_cmp_gt_i64_e64 s[0:1], 0, v[8:9]
	buffer_store_dword v0, off, s[96:99], 0 offset:300 ; 4-byte Folded Spill
	v_writelane_b32 v125, s0, 43
	v_not_b32_e32 v0, v9
	v_mov_b32_e32 v9, v85
	v_writelane_b32 v125, s1, 44
	v_cmp_gt_i64_e64 s[0:1], 0, v[8:9]
	buffer_store_dword v0, off, s[96:99], 0 offset:304 ; 4-byte Folded Spill
	v_writelane_b32 v125, s0, 45
	v_not_b32_e32 v0, v9
	v_mov_b32_e32 v9, v82
	v_writelane_b32 v125, s1, 46
	v_cmp_gt_i64_e64 s[0:1], 0, v[8:9]
	buffer_store_dword v0, off, s[96:99], 0 offset:308 ; 4-byte Folded Spill
	v_writelane_b32 v125, s0, 47
	v_not_b32_e32 v0, v9
	v_mov_b32_e32 v9, v79
	v_writelane_b32 v125, s1, 48
	v_cmp_gt_i64_e64 s[0:1], 0, v[8:9]
	buffer_store_dword v0, off, s[96:99], 0 offset:312 ; 4-byte Folded Spill
	v_writelane_b32 v125, s0, 49
	v_not_b32_e32 v0, v9
	v_mov_b32_e32 v9, v77
	v_writelane_b32 v125, s1, 50
	v_cmp_gt_i64_e64 s[0:1], 0, v[8:9]
	buffer_store_dword v0, off, s[96:99], 0 offset:316 ; 4-byte Folded Spill
	v_writelane_b32 v125, s0, 51
	v_not_b32_e32 v0, v9
	v_mov_b32_e32 v9, v72
	v_writelane_b32 v125, s1, 52
	v_cmp_gt_i64_e64 s[0:1], 0, v[8:9]
	buffer_store_dword v0, off, s[96:99], 0 offset:320 ; 4-byte Folded Spill
	v_writelane_b32 v125, s0, 53
	v_not_b32_e32 v0, v9
	v_mov_b32_e32 v9, v70
	v_writelane_b32 v125, s1, 54
	v_cmp_gt_i64_e64 s[0:1], 0, v[8:9]
	buffer_store_dword v0, off, s[96:99], 0 offset:324 ; 4-byte Folded Spill
	v_writelane_b32 v125, s0, 55
	v_not_b32_e32 v0, v9
	v_mov_b32_e32 v9, v68
	v_writelane_b32 v125, s1, 56
	v_cmp_gt_i64_e64 s[0:1], 0, v[8:9]
	buffer_store_dword v0, off, s[96:99], 0 offset:328 ; 4-byte Folded Spill
	v_writelane_b32 v125, s0, 57
	v_not_b32_e32 v0, v9
	v_mov_b32_e32 v9, v64
	v_writelane_b32 v125, s1, 58
	v_cmp_gt_i64_e64 s[0:1], 0, v[8:9]
	buffer_store_dword v0, off, s[96:99], 0 offset:332 ; 4-byte Folded Spill
	v_writelane_b32 v125, s0, 59
	v_not_b32_e32 v0, v9
	v_mov_b32_e32 v9, v62
	v_writelane_b32 v125, s1, 60
	v_cmp_gt_i64_e64 s[0:1], 0, v[8:9]
	buffer_store_dword v0, off, s[96:99], 0 offset:336 ; 4-byte Folded Spill
	v_writelane_b32 v125, s0, 61
	v_not_b32_e32 v0, v9
	v_mov_b32_e32 v9, v60
	v_writelane_b32 v125, s1, 62
	v_cmp_gt_i64_e64 s[0:1], 0, v[8:9]
	buffer_store_dword v0, off, s[96:99], 0 offset:340 ; 4-byte Folded Spill
	v_writelane_b32 v125, s0, 63
	v_not_b32_e32 v0, v9
	v_mov_b32_e32 v9, v58
	v_writelane_b32 v126, s1, 0
	v_cmp_gt_i64_e64 s[0:1], 0, v[8:9]
	buffer_store_dword v0, off, s[96:99], 0 offset:344 ; 4-byte Folded Spill
	v_writelane_b32 v126, s0, 1
	v_not_b32_e32 v0, v9
	v_mov_b32_e32 v9, v56
	v_writelane_b32 v126, s1, 2
	v_cmp_gt_i64_e64 s[0:1], 0, v[8:9]
	v_mov_b32_e32 v72, v92
	v_writelane_b32 v126, s0, 3
	v_writelane_b32 v126, s1, 4
	v_cmp_gt_i64_e64 s[0:1], 0, v[72:73]
	buffer_store_dword v0, off, s[96:99], 0 offset:348 ; 4-byte Folded Spill
	v_not_b32_e32 v0, v9
	buffer_store_dword v0, off, s[96:99], 0 offset:352 ; 4-byte Folded Spill
	v_writelane_b32 v126, s0, 5
	v_not_b32_e32 v0, v73
	v_mov_b32_e32 v73, v92
	v_writelane_b32 v126, s1, 6
	v_cmp_gt_i64_e64 s[0:1], 0, v[73:74]
	v_mov_b32_e32 v107, v92
	v_writelane_b32 v126, s0, 7
	v_writelane_b32 v126, s1, 8
	v_cmp_gt_i64_e64 s[0:1], 0, v[107:108]
	v_mov_b32_e32 v102, v92
	v_writelane_b32 v126, s0, 9
	;; [unrolled: 4-line block ×4, first 2 shown]
	v_writelane_b32 v126, s1, 14
	v_cmp_gt_i64_e64 s[0:1], 0, v[77:78]
	buffer_store_dword v0, off, s[96:99], 0 offset:356 ; 4-byte Folded Spill
	v_writelane_b32 v126, s0, 15
	v_writelane_b32 v126, s1, 16
	v_cmp_gt_i64_e64 s[0:1], 0, v[79:80]
	v_not_b32_e32 v0, v74
	v_writelane_b32 v126, s0, 17
	v_mov_b32_e32 v74, v92
	v_writelane_b32 v126, s1, 18
	v_cmp_gt_i64_e64 s[0:1], 0, v[74:75]
	buffer_store_dword v0, off, s[96:99], 0 offset:360 ; 4-byte Folded Spill
	v_not_b32_e32 v0, v108
	buffer_store_dword v0, off, s[96:99], 0 offset:364 ; 4-byte Folded Spill
	v_not_b32_e32 v0, v103
	v_writelane_b32 v126, s0, 19
	v_mov_b32_e32 v82, v92
	buffer_store_dword v0, off, s[96:99], 0 offset:368 ; 4-byte Folded Spill
	v_not_b32_e32 v0, v30
	v_writelane_b32 v126, s1, 20
	v_cmp_gt_i64_e64 s[0:1], 0, v[82:83]
	buffer_store_dword v0, off, s[96:99], 0 offset:372 ; 4-byte Folded Spill
	v_not_b32_e32 v0, v78
	buffer_store_dword v0, off, s[96:99], 0 offset:376 ; 4-byte Folded Spill
	v_not_b32_e32 v0, v80
	v_writelane_b32 v126, s0, 21
	v_mov_b32_e32 v80, v92
	v_writelane_b32 v126, s1, 22
	v_cmp_gt_i64_e64 s[0:1], 0, v[80:81]
	v_mov_b32_e32 v85, v92
	v_writelane_b32 v126, s0, 23
	v_writelane_b32 v126, s1, 24
	v_cmp_gt_i64_e64 s[0:1], 0, v[85:86]
	v_mov_b32_e32 v87, v92
	v_writelane_b32 v126, s0, 25
	v_writelane_b32 v126, s1, 26
	v_cmp_gt_i64_e64 s[0:1], 0, v[87:88]
	buffer_store_dword v0, off, s[96:99], 0 offset:380 ; 4-byte Folded Spill
	v_not_b32_e32 v0, v75
	v_writelane_b32 v126, s0, 27
	v_mov_b32_e32 v89, v92
	buffer_store_dword v0, off, s[96:99], 0 offset:384 ; 4-byte Folded Spill
	v_not_b32_e32 v0, v83
	v_writelane_b32 v126, s1, 28
	v_cmp_gt_i64_e64 s[0:1], 0, v[89:90]
	buffer_store_dword v0, off, s[96:99], 0 offset:388 ; 4-byte Folded Spill
	v_not_b32_e32 v0, v81
	buffer_store_dword v0, off, s[96:99], 0 offset:392 ; 4-byte Folded Spill
	v_not_b32_e32 v0, v86
	v_writelane_b32 v126, s0, 29
	v_mov_b32_e32 v103, v92
	buffer_store_dword v0, off, s[96:99], 0 offset:396 ; 4-byte Folded Spill
	v_not_b32_e32 v0, v88
	v_writelane_b32 v126, s1, 30
	v_cmp_gt_i64_e64 s[0:1], 0, v[103:104]
	buffer_store_dword v0, off, s[96:99], 0 offset:400 ; 4-byte Folded Spill
	v_not_b32_e32 v0, v90
	buffer_store_dword v0, off, s[96:99], 0 offset:404 ; 4-byte Folded Spill
	v_writelane_b32 v126, s0, 31
	v_not_b32_e32 v0, v104
	v_mov_b32_e32 v104, v92
	v_writelane_b32 v126, s1, 32
	v_cmp_gt_i64_e64 s[0:1], 0, v[104:105]
	v_mov_b32_e32 v93, v92
	v_writelane_b32 v126, s0, 33
	v_writelane_b32 v126, s1, 34
	v_cmp_gt_i64_e64 s[0:1], 0, v[93:94]
	v_mov_b32_e32 v95, v92
	v_writelane_b32 v126, s0, 35
	;; [unrolled: 4-line block ×3, first 2 shown]
	buffer_store_dword v0, off, s[96:99], 0 offset:408 ; 4-byte Folded Spill
	v_not_b32_e32 v0, v105
	v_writelane_b32 v126, s1, 38
	v_cmp_gt_i64_e64 s[0:1], 0, v[90:91]
	buffer_store_dword v0, off, s[96:99], 0 offset:412 ; 4-byte Folded Spill
	v_not_b32_e32 v0, v94
	buffer_store_dword v0, off, s[96:99], 0 offset:416 ; 4-byte Folded Spill
	v_not_b32_e32 v0, v96
	v_writelane_b32 v126, s0, 39
	v_mov_b32_e32 v96, v92
	v_writelane_b32 v126, s1, 40
	v_cmp_gt_i64_e64 s[0:1], 0, v[96:97]
	buffer_store_dword v0, off, s[96:99], 0 offset:420 ; 4-byte Folded Spill
	v_not_b32_e32 v0, v91
	buffer_store_dword v0, off, s[96:99], 0 offset:424 ; 4-byte Folded Spill
	v_writelane_b32 v126, s0, 41
	v_not_b32_e32 v0, v97
	v_mov_b32_e32 v97, v92
	v_writelane_b32 v126, s1, 42
	v_cmp_gt_i64_e64 s[0:1], 0, v[97:98]
	buffer_store_dword v0, off, s[96:99], 0 offset:428 ; 4-byte Folded Spill
	v_writelane_b32 v126, s0, 43
	v_not_b32_e32 v0, v98
	v_mov_b32_e32 v98, v92
	v_writelane_b32 v126, s1, 44
	v_cmp_gt_i64_e64 s[0:1], 0, v[98:99]
	;; [unrolled: 6-line block ×3, first 2 shown]
	buffer_store_dword v0, off, s[96:99], 0 offset:436 ; 4-byte Folded Spill
	v_writelane_b32 v126, s0, 47
	v_not_b32_e32 v0, v100
	v_mov_b32_e32 v9, v2
	v_writelane_b32 v126, s1, 48
	buffer_store_dword v0, off, s[96:99], 0 offset:440 ; 4-byte Folded Spill
	v_cmp_gt_i64_e64 s[0:1], 0, v[8:9]
	v_not_b32_e32 v0, v9
	buffer_load_dword v9, off, s[96:99], 0 offset:144 ; 4-byte Folded Reload
	s_waitcnt vmcnt(45)
	v_ashrrev_i32_e32 v95, 31, v54
	buffer_load_dword v54, off, s[96:99], 0 offset:260 ; 4-byte Folded Reload
	v_writelane_b32 v126, s0, 49
	v_mov_b32_e32 v108, v92
	v_writelane_b32 v126, s1, 50
	v_cmp_gt_i64_e64 s[0:1], 0, v[108:109]
	v_not_b32_e32 v91, v109
	v_writelane_b32 v126, s0, 51
	v_mov_b32_e32 v109, v92
	v_writelane_b32 v126, s1, 52
	v_cmp_gt_i64_e64 s[0:1], 0, v[109:110]
	v_mov_b32_e32 v100, v92
	v_writelane_b32 v126, s0, 53
	v_writelane_b32 v126, s1, 54
	v_cmp_gt_i64_e64 s[0:1], 0, v[100:101]
	v_mov_b32_e32 v111, v92
	v_writelane_b32 v126, s0, 55
	;; [unrolled: 4-line block ×4, first 2 shown]
	v_writelane_b32 v126, s1, 60
	v_cmp_gt_i64_e64 s[0:1], 0, v[117:118]
	v_not_b32_e32 v85, v123
	v_writelane_b32 v126, s0, 61
	v_writelane_b32 v126, s1, 62
	v_cmp_gt_i64_e64 s[0:1], 0, v[122:123]
	v_not_b32_e32 v29, v67
	v_not_b32_e32 v82, v118
	v_writelane_b32 v126, s0, 63
	v_mov_b32_e32 v118, v92
	v_writelane_b32 v127, s1, 0
	v_cmp_gt_i64_e64 s[0:1], 0, v[118:119]
	v_not_b32_e32 v86, v119
	v_writelane_b32 v127, s0, 1
	v_mov_b32_e32 v119, v92
	v_writelane_b32 v127, s1, 2
	v_cmp_gt_i64_e64 s[0:1], 0, v[119:120]
	buffer_store_dword v0, off, s[96:99], 0 offset:444 ; 4-byte Folded Spill
	v_mov_b32_e32 v0, v92
	v_writelane_b32 v127, s0, 3
	v_writelane_b32 v127, s1, 4
	v_cmp_gt_i64_e64 s[0:1], 0, v[0:1]
	v_mov_b32_e32 v2, v92
	v_writelane_b32 v127, s0, 5
	v_writelane_b32 v127, s1, 6
	v_cmp_gt_i64_e64 s[0:1], 0, v[2:3]
	v_not_b32_e32 v0, v1
	v_writelane_b32 v127, s0, 7
	v_not_b32_e32 v1, v3
	v_mov_b32_e32 v3, v92
	v_writelane_b32 v127, s1, 8
	v_cmp_gt_i64_e64 s[0:1], 0, v[3:4]
	v_mov_b32_e32 v30, v92
	v_writelane_b32 v127, s0, 9
	v_mov_b32_e32 v68, v92
	v_writelane_b32 v127, s1, 10
	v_cmp_gt_i64_e64 s[0:1], 0, v[30:31]
	v_cmp_gt_i64_e64 s[58:59], 0, v[68:69]
	v_not_b32_e32 v30, v69
	v_mov_b32_e32 v70, v92
	v_cmp_gt_i64_e64 s[62:63], 0, v[70:71]
	v_writelane_b32 v127, s0, 11
	v_writelane_b32 v127, s1, 12
	v_cmp_gt_i64_e64 s[0:1], 0, v[32:33]
	v_not_b32_e32 v32, v71
	v_ashrrev_i32_e32 v0, 31, v0
	buffer_store_dword v0, off, s[96:99], 0 offset:848 ; 4-byte Folded Spill
	v_ashrrev_i32_e32 v0, 31, v10
	buffer_store_dword v0, off, s[96:99], 0 offset:852 ; 4-byte Folded Spill
	;; [unrolled: 2-line block ×3, first 2 shown]
	v_ashrrev_i32_e32 v0, 31, v14
	v_writelane_b32 v127, s0, 13
	buffer_store_dword v0, off, s[96:99], 0 offset:860 ; 4-byte Folded Spill
	v_ashrrev_i32_e32 v0, 31, v15
	v_writelane_b32 v127, s1, 14
	s_waitcnt vmcnt(5)
	v_ashrrev_i32_e32 v96, 31, v54
	buffer_load_dword v54, off, s[96:99], 0 offset:264 ; 4-byte Folded Reload
	v_cmp_gt_i64_e64 s[0:1], 0, v[34:35]
	buffer_store_dword v0, off, s[96:99], 0 offset:864 ; 4-byte Folded Spill
	v_ashrrev_i32_e32 v0, 31, v16
	buffer_store_dword v0, off, s[96:99], 0 offset:868 ; 4-byte Folded Spill
	v_ashrrev_i32_e32 v0, 31, v17
	v_writelane_b32 v127, s0, 15
	buffer_store_dword v0, off, s[96:99], 0 offset:872 ; 4-byte Folded Spill
	v_ashrrev_i32_e32 v0, 31, v18
	v_writelane_b32 v127, s1, 16
	v_cmp_gt_i64_e64 s[0:1], 0, v[36:37]
	buffer_store_dword v0, off, s[96:99], 0 offset:876 ; 4-byte Folded Spill
	v_ashrrev_i32_e32 v0, 31, v20
	buffer_store_dword v0, off, s[96:99], 0 offset:880 ; 4-byte Folded Spill
	v_ashrrev_i32_e32 v0, 31, v21
	v_not_b32_e32 v2, v4
	v_mov_b32_e32 v4, v92
	v_writelane_b32 v127, s0, 17
	buffer_store_dword v0, off, s[96:99], 0 offset:884 ; 4-byte Folded Spill
	v_ashrrev_i32_e32 v0, 31, v22
	v_writelane_b32 v127, s1, 18
	v_cmp_gt_i64_e64 s[0:1], 0, v[4:5]
	v_not_b32_e32 v4, v5
	v_mov_b32_e32 v5, v92
	buffer_store_dword v0, off, s[96:99], 0 offset:888 ; 4-byte Folded Spill
	v_ashrrev_i32_e32 v0, 31, v23
	v_cmp_gt_i64_e64 s[44:45], 0, v[5:6]
	v_not_b32_e32 v5, v6
	buffer_store_dword v0, off, s[96:99], 0 offset:892 ; 4-byte Folded Spill
	v_ashrrev_i32_e32 v0, 31, v24
	buffer_store_dword v0, off, s[96:99], 0 offset:896 ; 4-byte Folded Spill
	v_ashrrev_i32_e32 v0, 31, v5
	v_mov_b32_e32 v6, v92
	buffer_store_dword v0, off, s[96:99], 0 offset:900 ; 4-byte Folded Spill
	v_ashrrev_i32_e32 v0, 31, v25
	v_cmp_gt_i64_e64 s[50:51], 0, v[6:7]
	v_not_b32_e32 v6, v7
	buffer_store_dword v0, off, s[96:99], 0 offset:904 ; 4-byte Folded Spill
	v_ashrrev_i32_e32 v0, 31, v26
	buffer_store_dword v0, off, s[96:99], 0 offset:908 ; 4-byte Folded Spill
	v_ashrrev_i32_e32 v0, 31, v6
	buffer_store_dword v0, off, s[96:99], 0 offset:912 ; 4-byte Folded Spill
	v_ashrrev_i32_e32 v0, 31, v29
	v_not_b32_e32 v3, v31
	v_not_b32_e32 v31, v76
	buffer_store_dword v0, off, s[96:99], 0 offset:788 ; 4-byte Folded Spill
	v_ashrrev_i32_e32 v0, 31, v30
	buffer_store_dword v0, off, s[96:99], 0 offset:792 ; 4-byte Folded Spill
	v_ashrrev_i32_e32 v0, 31, v31
	v_not_b32_e32 v33, v116
	buffer_store_dword v0, off, s[96:99], 0 offset:796 ; 4-byte Folded Spill
	v_ashrrev_i32_e32 v0, 31, v32
	v_not_b32_e32 v7, v114
	buffer_store_dword v0, off, s[96:99], 0 offset:800 ; 4-byte Folded Spill
	v_ashrrev_i32_e32 v0, 31, v33
	buffer_store_dword v0, off, s[96:99], 0 offset:804 ; 4-byte Folded Spill
	v_ashrrev_i32_e32 v0, 31, v7
	buffer_store_dword v0, off, s[96:99], 0 offset:808 ; 4-byte Folded Spill
	v_mov_b32_e32 v75, v92
	v_cmp_gt_i64_e64 s[60:61], 0, v[75:76]
	v_not_b32_e32 v78, v101
	buffer_load_dword v6, off, s[96:99], 0  ; 4-byte Folded Reload
	v_not_b32_e32 v80, v106
	v_not_b32_e32 v8, v110
	v_writelane_b32 v127, s0, 19
	v_writelane_b32 v127, s1, 20
	v_cmp_gt_i64_e64 s[0:1], 0, v[38:39]
	v_not_b32_e32 v79, v112
	v_mov_b32_e32 v112, v92
	v_cmp_gt_i64_e64 s[48:49], 0, v[112:113]
	v_writelane_b32 v127, s0, 21
	v_mov_b32_e32 v113, v92
	v_writelane_b32 v127, s1, 22
	v_cmp_gt_i64_e64 s[0:1], 0, v[40:41]
	v_cmp_gt_i64_e64 s[66:67], 0, v[113:114]
	v_mov_b32_e32 v115, v92
	v_cmp_gt_i64_e64 s[64:65], 0, v[115:116]
	v_writelane_b32 v127, s0, 23
	v_writelane_b32 v127, s1, 24
	v_cmp_gt_i64_e64 s[0:1], 0, v[42:43]
	s_waitcnt vmcnt(20)
	v_ashrrev_i32_e32 v103, 31, v54
	buffer_load_dword v54, off, s[96:99], 0 offset:268 ; 4-byte Folded Reload
	v_writelane_b32 v127, s0, 25
	v_mov_b32_e32 v83, v92
	v_writelane_b32 v127, s1, 26
	v_cmp_gt_i64_e64 s[0:1], 0, v[83:84]
	v_not_b32_e32 v87, v120
	v_writelane_b32 v127, s0, 27
	v_writelane_b32 v127, s1, 28
	v_cmp_gt_i64_e64 s[0:1], 0, v[44:45]
	v_ashrrev_i32_e32 v108, 31, v121
	v_writelane_b32 v127, s0, 29
	v_writelane_b32 v127, s1, 30
	s_movk_i32 s0, 0x200
	v_mov_b32_e32 v56, v92
	v_cmp_gt_i64_e64 s[40:41], 0, v[56:57]
	v_mov_b32_e32 v58, v92
	v_mov_b32_e32 v60, v92
	v_cmp_gt_i64_e64 s[42:43], 0, v[58:59]
	v_cmp_gt_i64_e64 s[46:47], 0, v[60:61]
	v_mov_b32_e32 v62, v92
	v_cmp_gt_i64_e64 s[52:53], 0, v[62:63]
	v_mov_b32_e32 v64, v92
	v_cmp_gt_i64_e64 s[54:55], 0, v[64:65]
	v_ashrrev_i32_e32 v8, 31, v8
	buffer_store_dword v8, off, s[96:99], 0 offset:844 ; 4-byte Folded Spill
	v_ashrrev_i32_e32 v79, 31, v79
	v_ashrrev_i32_e32 v1, 31, v1
	;; [unrolled: 1-line block ×6, first 2 shown]
	v_mov_b32_e32 v30, v3
	v_mov_b32_e32 v31, v4
	v_ashrrev_i32_e32 v78, 31, v78
	v_ashrrev_i32_e32 v80, 31, v80
	;; [unrolled: 1-line block ×7, first 2 shown]
	v_mov_b32_e32 v10, v80
	v_mov_b32_e32 v28, v80
	;; [unrolled: 1-line block ×4, first 2 shown]
	buffer_load_dword v0, off, s[96:99], 0 offset:784 ; 4-byte Folded Reload
	buffer_load_dword v5, off, s[96:99], 0 offset:12 ; 4-byte Folded Reload
	s_waitcnt vmcnt(3)
	v_ashrrev_i32_e32 v107, 31, v54
	buffer_load_dword v54, off, s[96:99], 0 offset:136 ; 4-byte Folded Reload
	s_waitcnt vmcnt(2)
	v_cmp_gt_u32_e64 s[4:5], s0, v0
	v_lshlrev_b32_e32 v0, 2, v0
	s_waitcnt vmcnt(1)
	v_cmp_eq_u32_e64 s[70:71], 1, v5
	v_add_co_u32_e64 v5, s[6:7], -1, v5
	s_waitcnt vmcnt(0)
	v_ashrrev_i32_e32 v122, 31, v54
	buffer_load_dword v54, off, s[96:99], 0 offset:128 ; 4-byte Folded Reload
	s_waitcnt vmcnt(0)
	v_ashrrev_i32_e32 v123, 31, v54
	buffer_load_dword v54, off, s[96:99], 0 offset:120 ; 4-byte Folded Reload
	;; [unrolled: 3-line block ×9, first 2 shown]
	v_ashrrev_i32_e32 v52, 31, v52
	s_waitcnt vmcnt(0)
	v_ashrrev_i32_e32 v75, 31, v54
	buffer_load_dword v54, off, s[96:99], 0 offset:272 ; 4-byte Folded Reload
	s_waitcnt vmcnt(0)
	v_ashrrev_i32_e32 v76, 31, v54
	buffer_load_dword v54, off, s[96:99], 0 offset:276 ; 4-byte Folded Reload
	;; [unrolled: 3-line block ×12, first 2 shown]
	s_waitcnt vmcnt(0)
	v_ashrrev_i32_e32 v104, 31, v54
	buffer_store_dword v5, off, s[96:99], 0 offset:316 ; 4-byte Folded Spill
	buffer_load_dword v5, off, s[96:99], 0 offset:4 ; 4-byte Folded Reload
	v_ashrrev_i32_e32 v53, 31, v9
	buffer_load_dword v9, off, s[96:99], 0 offset:148 ; 4-byte Folded Reload
	buffer_load_dword v54, off, s[96:99], 0 offset:320 ; 4-byte Folded Reload
	v_cmp_eq_u32_e64 s[68:69], 1, v6
	s_waitcnt vmcnt(2)
	v_cmp_eq_u32_e64 s[72:73], 1, v5
	v_add_co_u32_e64 v5, s[8:9], -1, v5
	buffer_store_dword v5, off, s[96:99], 0 offset:320 ; 4-byte Folded Spill
	buffer_load_dword v5, off, s[96:99], 0 offset:8 ; 4-byte Folded Reload
	s_waitcnt vmcnt(3)
	v_ashrrev_i32_e32 v34, 31, v9
	buffer_load_dword v9, off, s[96:99], 0 offset:152 ; 4-byte Folded Reload
	s_waitcnt vmcnt(3)
	v_ashrrev_i32_e32 v105, 31, v54
	buffer_load_dword v54, off, s[96:99], 0 offset:324 ; 4-byte Folded Reload
	s_waitcnt vmcnt(2)
	v_cmp_eq_u32_e64 s[74:75], 1, v5
	v_add_co_u32_e64 v5, s[10:11], -1, v5
	buffer_store_dword v5, off, s[96:99], 0 offset:324 ; 4-byte Folded Spill
	buffer_load_dword v5, off, s[96:99], 0 offset:16 ; 4-byte Folded Reload
	s_waitcnt vmcnt(3)
	v_ashrrev_i32_e32 v35, 31, v9
	buffer_load_dword v9, off, s[96:99], 0 offset:156 ; 4-byte Folded Reload
	s_waitcnt vmcnt(3)
	v_ashrrev_i32_e32 v106, 31, v54
	buffer_load_dword v54, off, s[96:99], 0 offset:328 ; 4-byte Folded Reload
	;; [unrolled: 11-line block ×11, first 2 shown]
	v_writelane_b32 v127, s0, 31
	v_writelane_b32 v127, s1, 32
	s_waitcnt vmcnt(2)
	v_cmp_eq_u32_e64 s[94:95], 1, v5
	v_add_co_u32_e64 v5, s[0:1], -1, v5
	buffer_store_dword v5, off, s[96:99], 0 offset:364 ; 4-byte Folded Spill
	buffer_load_dword v5, off, s[96:99], 0 offset:56 ; 4-byte Folded Reload
	s_waitcnt vmcnt(3)
	v_ashrrev_i32_e32 v50, 31, v9
	buffer_load_dword v9, off, s[96:99], 0 offset:196 ; 4-byte Folded Reload
	s_waitcnt vmcnt(3)
	v_ashrrev_i32_e32 v118, 31, v54
	buffer_load_dword v54, off, s[96:99], 0 offset:368 ; 4-byte Folded Reload
	v_writelane_b32 v127, s0, 33
	v_writelane_b32 v127, s1, 34
	s_waitcnt vmcnt(2)
	v_cmp_eq_u32_e64 s[0:1], 1, v5
	v_add_co_u32_e64 v5, s[2:3], -1, v5
	buffer_store_dword v5, off, s[96:99], 0 offset:368 ; 4-byte Folded Spill
	s_waitcnt vmcnt(1)
	v_ashrrev_i32_e32 v119, 31, v54
	buffer_load_dword v54, off, s[96:99], 0 offset:372 ; 4-byte Folded Reload
	buffer_load_dword v5, off, s[96:99], 0 offset:60 ; 4-byte Folded Reload
	v_ashrrev_i32_e32 v51, 31, v9
	buffer_load_dword v9, off, s[96:99], 0 offset:200 ; 4-byte Folded Reload
	v_writelane_b32 v127, s2, 35
	v_writelane_b32 v127, s3, 36
	s_waitcnt vmcnt(2)
	v_ashrrev_i32_e32 v120, 31, v54
	buffer_load_dword v54, off, s[96:99], 0 offset:376 ; 4-byte Folded Reload
	s_waitcnt vmcnt(2)
	v_cmp_eq_u32_e64 s[2:3], 1, v5
	s_waitcnt vmcnt(1)
	v_ashrrev_i32_e32 v42, 31, v9
	buffer_load_dword v9, off, s[96:99], 0 offset:204 ; 4-byte Folded Reload
	v_add_co_u32_e32 v5, vcc, -1, v5
	v_writelane_b32 v127, vcc_lo, 37
	buffer_store_dword v5, off, s[96:99], 0 offset:372 ; 4-byte Folded Spill
	v_writelane_b32 v127, vcc_hi, 38
	v_add_co_u32_e32 v5, vcc, -1, v6
	buffer_store_dword v5, off, s[96:99], 0 offset:376 ; 4-byte Folded Spill
	v_addc_co_u32_e64 v5, vcc, 0, -1, vcc
	v_mov_b32_e32 v6, v11
	s_waitcnt vmcnt(3)
	v_ashrrev_i32_e32 v121, 31, v54
	buffer_load_dword v54, off, s[96:99], 0 offset:380 ; 4-byte Folded Reload
	s_waitcnt vmcnt(3)
	v_ashrrev_i32_e32 v43, 31, v9
	buffer_load_dword v9, off, s[96:99], 0 offset:208 ; 4-byte Folded Reload
	;; [unrolled: 3-line block ×3, first 2 shown]
	v_mov_b32_e32 v13, v55
	s_waitcnt vmcnt(1)
	v_ashrrev_i32_e32 v44, 31, v9
	buffer_load_dword v9, off, s[96:99], 0 offset:212 ; 4-byte Folded Reload
	s_waitcnt vmcnt(1)
	v_ashrrev_i32_e32 v56, 31, v54
	buffer_load_dword v54, off, s[96:99], 0 offset:388 ; 4-byte Folded Reload
	v_mov_b32_e32 v21, v56
	s_waitcnt vmcnt(1)
	v_ashrrev_i32_e32 v45, 31, v9
	buffer_load_dword v9, off, s[96:99], 0 offset:216 ; 4-byte Folded Reload
	s_waitcnt vmcnt(1)
	v_ashrrev_i32_e32 v57, 31, v54
	buffer_load_dword v54, off, s[96:99], 0 offset:392 ; 4-byte Folded Reload
	s_waitcnt vmcnt(1)
	v_ashrrev_i32_e32 v46, 31, v9
	buffer_load_dword v9, off, s[96:99], 0 offset:220 ; 4-byte Folded Reload
	s_waitcnt vmcnt(1)
	v_ashrrev_i32_e32 v60, 31, v54
	buffer_load_dword v54, off, s[96:99], 0 offset:396 ; 4-byte Folded Reload
	v_mov_b32_e32 v22, v60
	s_waitcnt vmcnt(1)
	v_ashrrev_i32_e32 v58, 31, v9
	buffer_load_dword v9, off, s[96:99], 0 offset:224 ; 4-byte Folded Reload
	s_waitcnt vmcnt(1)
	v_ashrrev_i32_e32 v61, 31, v54
	buffer_load_dword v54, off, s[96:99], 0 offset:400 ; 4-byte Folded Reload
	;; [unrolled: 13-line block ×3, first 2 shown]
	v_mov_b32_e32 v14, v63
	s_waitcnt vmcnt(1)
	v_ashrrev_i32_e32 v84, 31, v9
	buffer_load_dword v9, off, s[96:99], 0 offset:236 ; 4-byte Folded Reload
	s_waitcnt vmcnt(1)
	v_ashrrev_i32_e32 v64, 31, v54
	buffer_load_dword v54, off, s[96:99], 0 offset:412 ; 4-byte Folded Reload
	v_mov_b32_e32 v24, v64
	s_waitcnt vmcnt(1)
	v_ashrrev_i32_e32 v88, 31, v9
	buffer_load_dword v9, off, s[96:99], 0 offset:240 ; 4-byte Folded Reload
	s_waitcnt vmcnt(1)
	v_ashrrev_i32_e32 v65, 31, v54
	buffer_load_dword v54, off, s[96:99], 0 offset:416 ; 4-byte Folded Reload
	;; [unrolled: 3-line block ×4, first 2 shown]
	v_mov_b32_e32 v8, v66
	s_waitcnt vmcnt(1)
	v_ashrrev_i32_e32 v90, 31, v9
	buffer_load_dword v9, off, s[96:99], 0 offset:248 ; 4-byte Folded Reload
	v_mov_b32_e32 v25, v66
	buffer_store_dword v5, off, s[96:99], 0 offset:380 ; 4-byte Folded Spill
	v_addc_co_u32_e64 v5, s[6:7], 0, -1, s[6:7]
	buffer_store_dword v5, off, s[96:99], 0 offset:384 ; 4-byte Folded Spill
	v_addc_co_u32_e64 v5, s[6:7], 0, -1, s[8:9]
	;; [unrolled: 2-line block ×11, first 2 shown]
	v_readlane_b32 s6, v127, 31
	v_readlane_b32 s7, v127, 32
	;; [unrolled: 1-line block ×20, first 2 shown]
	s_waitcnt vmcnt(12)
	v_ashrrev_i32_e32 v54, 31, v54
	buffer_store_dword v54, off, s[96:99], 0 offset:812 ; 4-byte Folded Spill
	buffer_load_dword v54, off, s[96:99], 0 offset:424 ; 4-byte Folded Reload
	s_waitcnt vmcnt(13)
	v_ashrrev_i32_e32 v9, 31, v9
	buffer_store_dword v5, off, s[96:99], 0 offset:424 ; 4-byte Folded Spill
	v_addc_co_u32_e64 v5, s[6:7], 0, -1, s[6:7]
	v_readlane_b32 s6, v127, 33
	v_readlane_b32 s7, v127, 34
	s_waitcnt vmcnt(1)
	v_ashrrev_i32_e32 v54, 31, v54
	buffer_store_dword v54, off, s[96:99], 0 offset:816 ; 4-byte Folded Spill
	buffer_load_dword v54, off, s[96:99], 0 offset:428 ; 4-byte Folded Reload
	s_waitcnt vmcnt(0)
	v_ashrrev_i32_e32 v54, 31, v54
	buffer_store_dword v54, off, s[96:99], 0 offset:820 ; 4-byte Folded Spill
	buffer_load_dword v54, off, s[96:99], 0 offset:432 ; 4-byte Folded Reload
	;; [unrolled: 4-line block ×5, first 2 shown]
	s_waitcnt vmcnt(0)
	v_ashrrev_i32_e32 v54, 31, v54
	buffer_store_dword v5, off, s[96:99], 0 offset:428 ; 4-byte Folded Spill
	v_addc_co_u32_e64 v5, s[6:7], 0, -1, s[6:7]
	v_readlane_b32 s6, v127, 35
	v_readlane_b32 s7, v127, 36
	buffer_store_dword v5, off, s[96:99], 0 offset:432 ; 4-byte Folded Spill
	v_addc_co_u32_e64 v5, s[6:7], 0, -1, s[6:7]
	v_readlane_b32 s6, v127, 37
	v_readlane_b32 s7, v127, 38
	buffer_store_dword v54, off, s[96:99], 0 offset:836 ; 4-byte Folded Spill
	v_ashrrev_i32_e32 v54, 31, v91
	buffer_store_dword v5, off, s[96:99], 0 offset:436 ; 4-byte Folded Spill
	v_addc_co_u32_e64 v5, s[6:7], 0, -1, s[6:7]
	buffer_store_dword v54, off, s[96:99], 0 offset:840 ; 4-byte Folded Spill
	buffer_store_dword v5, off, s[96:99], 0 offset:440 ; 4-byte Folded Spill
	;; [unrolled: 1-line block ×3, first 2 shown]
	buffer_store_dword v53, off, s[96:99], 0 ; 4-byte Folded Spill
	buffer_store_dword v53, off, s[96:99], 0 offset:444 ; 4-byte Folded Spill
	buffer_store_dword v34, off, s[96:99], 0 offset:4 ; 4-byte Folded Spill
	;; [unrolled: 1-line block ×136, first 2 shown]
	v_mov_b32_e32 v9, v120
	v_mov_b32_e32 v54, v121
	;; [unrolled: 1-line block ×4, first 2 shown]
	buffer_load_dword v98, off, s[96:99], 0 offset:812 ; 4-byte Folded Reload
	buffer_load_dword v99, off, s[96:99], 0 offset:816 ; 4-byte Folded Reload
	;; [unrolled: 1-line block ×16, first 2 shown]
	v_mov_b32_e32 v76, v79
	v_mov_b32_e32 v107, v79
	;; [unrolled: 1-line block ×7, first 2 shown]
	buffer_load_dword v121, off, s[96:99], 0 offset:852 ; 4-byte Folded Reload
	buffer_load_dword v106, off, s[96:99], 0 offset:856 ; 4-byte Folded Reload
	;; [unrolled: 1-line block ×8, first 2 shown]
	v_mov_b32_e32 v122, v11
	v_mov_b32_e32 v11, v4
	buffer_load_dword v33, off, s[96:99], 0 offset:884 ; 4-byte Folded Reload
	buffer_load_dword v117, off, s[96:99], 0 offset:888 ; 4-byte Folded Reload
	;; [unrolled: 1-line block ×8, first 2 shown]
	v_mov_b32_e32 v93, v55
	v_mov_b32_e32 v59, v56
	;; [unrolled: 1-line block ×27, first 2 shown]
	s_waitcnt vmcnt(31)
	v_mov_b32_e32 v73, v98
	s_waitcnt vmcnt(30)
	v_mov_b32_e32 v51, v99
	;; [unrolled: 2-line block ×32, first 2 shown]
	s_branch .LBB17_2
.LBB17_1:                               ;   in Loop: Header=BB17_2 Depth=1
	s_or_b64 exec, exec, s[6:7]
	s_add_i32 s33, s33, -1
	s_cmp_eq_u32 s33, 0
	s_waitcnt lgkmcnt(0)
	s_barrier
	s_cbranch_scc1 .LBB17_36
.LBB17_2:                               ; =>This Inner Loop Header: Depth=1
	s_and_saveexec_b64 s[6:7], s[4:5]
	s_cbranch_execz .LBB17_4
; %bb.3:                                ;   in Loop: Header=BB17_2 Depth=1
	buffer_load_dword v43, off, s[96:99], 0 offset:716 ; 4-byte Folded Reload
	s_waitcnt vmcnt(0)
	ds_write_b32 v43, v92
.LBB17_4:                               ;   in Loop: Header=BB17_2 Depth=1
	s_or_b64 exec, exec, s[6:7]
	v_cndmask_b32_e64 v43, 0, 1, s[68:69]
	s_waitcnt lgkmcnt(0)
	s_barrier
	v_cmp_ne_u32_e32 vcc, 0, v43
	buffer_load_dword v43, off, s[96:99], 0 offset:380 ; 4-byte Folded Reload
	buffer_load_dword v44, off, s[96:99], 0 offset:376 ; 4-byte Folded Reload
	buffer_load_dword v46, off, s[96:99], 0 ; 4-byte Folded Reload
	v_cndmask_b32_e64 v45, 0, 1, s[10:11]
	s_waitcnt vmcnt(2)
	v_xor_b32_e32 v43, vcc_hi, v43
	s_waitcnt vmcnt(1)
	v_xor_b32_e32 v44, vcc_lo, v44
	v_cmp_ne_u32_e32 vcc, 0, v45
	buffer_load_dword v45, off, s[96:99], 0 offset:444 ; 4-byte Folded Reload
	v_and_b32_e32 v44, exec_lo, v44
	s_waitcnt vmcnt(1)
	v_xor_b32_e32 v46, vcc_lo, v46
	v_and_b32_e32 v43, exec_hi, v43
	v_and_b32_e32 v44, v44, v46
	buffer_load_dword v46, off, s[96:99], 0 offset:4 ; 4-byte Folded Reload
	s_waitcnt vmcnt(1)
	v_xor_b32_e32 v45, vcc_hi, v45
	v_and_b32_e32 v43, v43, v45
	v_cndmask_b32_e64 v45, 0, 1, s[12:13]
	v_cmp_ne_u32_e32 vcc, 0, v45
	buffer_load_dword v45, off, s[96:99], 0 offset:448 ; 4-byte Folded Reload
	s_waitcnt vmcnt(1)
	v_xor_b32_e32 v46, vcc_lo, v46
	v_and_b32_e32 v44, v44, v46
	buffer_load_dword v46, off, s[96:99], 0 offset:8 ; 4-byte Folded Reload
	s_waitcnt vmcnt(1)
	v_xor_b32_e32 v45, vcc_hi, v45
	v_and_b32_e32 v43, v43, v45
	v_cndmask_b32_e64 v45, 0, 1, s[14:15]
	v_cmp_ne_u32_e32 vcc, 0, v45
	buffer_load_dword v45, off, s[96:99], 0 offset:452 ; 4-byte Folded Reload
	s_waitcnt vmcnt(1)
	v_xor_b32_e32 v46, vcc_lo, v46
	;; [unrolled: 10-line block ×7, first 2 shown]
	v_and_b32_e32 v44, v44, v46
	s_waitcnt vmcnt(0)
	v_xor_b32_e32 v45, vcc_hi, v45
	v_and_b32_e32 v43, v43, v45
	v_mbcnt_lo_u32_b32 v45, v44, 0
	v_mbcnt_hi_u32_b32 v45, v43, v45
	v_cmp_eq_u32_e32 vcc, 0, v45
	s_and_saveexec_b64 s[6:7], vcc
	s_cbranch_execz .LBB17_6
; %bb.5:                                ;   in Loop: Header=BB17_2 Depth=1
	v_bcnt_u32_b32 v44, v44, 0
	v_bcnt_u32_b32 v43, v43, v44
	buffer_load_dword v44, off, s[96:99], 0 offset:720 ; 4-byte Folded Reload
	s_waitcnt vmcnt(0)
	ds_add_u32 v44, v43
.LBB17_6:                               ;   in Loop: Header=BB17_2 Depth=1
	s_or_b64 exec, exec, s[6:7]
	v_cndmask_b32_e64 v43, 0, 1, s[70:71]
	v_cmp_ne_u32_e32 vcc, 0, v43
	buffer_load_dword v43, off, s[96:99], 0 offset:384 ; 4-byte Folded Reload
	buffer_load_dword v44, off, s[96:99], 0 offset:316 ; 4-byte Folded Reload
	;; [unrolled: 1-line block ×3, first 2 shown]
	v_cndmask_b32_e64 v45, 0, 1, s[26:27]
	v_readlane_b32 s6, v124, 23
	v_readlane_b32 s7, v124, 24
	s_waitcnt vmcnt(2)
	v_xor_b32_e32 v43, vcc_hi, v43
	s_waitcnt vmcnt(1)
	v_xor_b32_e32 v44, vcc_lo, v44
	v_cmp_ne_u32_e32 vcc, 0, v45
	buffer_load_dword v45, off, s[96:99], 0 offset:476 ; 4-byte Folded Reload
	v_and_b32_e32 v44, exec_lo, v44
	s_waitcnt vmcnt(1)
	v_xor_b32_e32 v46, vcc_lo, v46
	v_and_b32_e32 v43, exec_hi, v43
	v_and_b32_e32 v44, v44, v46
	buffer_load_dword v46, off, s[96:99], 0 offset:36 ; 4-byte Folded Reload
	s_waitcnt vmcnt(1)
	v_xor_b32_e32 v45, vcc_hi, v45
	v_and_b32_e32 v43, v43, v45
	v_cndmask_b32_e64 v45, 0, 1, s[6:7]
	v_cmp_ne_u32_e32 vcc, 0, v45
	buffer_load_dword v45, off, s[96:99], 0 offset:480 ; 4-byte Folded Reload
	s_waitcnt vmcnt(1)
	v_xor_b32_e32 v46, vcc_lo, v46
	v_readlane_b32 s6, v124, 25
	v_and_b32_e32 v44, v44, v46
	v_readlane_b32 s7, v124, 26
	buffer_load_dword v46, off, s[96:99], 0 offset:40 ; 4-byte Folded Reload
	s_waitcnt vmcnt(1)
	v_xor_b32_e32 v45, vcc_hi, v45
	v_and_b32_e32 v43, v43, v45
	v_cndmask_b32_e64 v45, 0, 1, s[6:7]
	v_cmp_ne_u32_e32 vcc, 0, v45
	buffer_load_dword v45, off, s[96:99], 0 offset:484 ; 4-byte Folded Reload
	s_waitcnt vmcnt(1)
	v_xor_b32_e32 v46, vcc_lo, v46
	v_readlane_b32 s6, v124, 27
	v_and_b32_e32 v44, v44, v46
	v_readlane_b32 s7, v124, 28
	;; [unrolled: 12-line block ×6, first 2 shown]
	buffer_load_dword v46, off, s[96:99], 0 offset:60 ; 4-byte Folded Reload
	s_waitcnt vmcnt(1)
	v_xor_b32_e32 v45, vcc_hi, v45
	v_and_b32_e32 v43, v43, v45
	v_cndmask_b32_e64 v45, 0, 1, s[6:7]
	v_cmp_ne_u32_e32 vcc, 0, v45
	buffer_load_dword v45, off, s[96:99], 0 offset:504 ; 4-byte Folded Reload
	s_waitcnt vmcnt(1)
	v_xor_b32_e32 v46, vcc_lo, v46
	v_and_b32_e32 v44, v44, v46
	s_waitcnt vmcnt(0)
	v_xor_b32_e32 v45, vcc_hi, v45
	v_and_b32_e32 v43, v43, v45
	v_mbcnt_lo_u32_b32 v45, v44, 0
	v_mbcnt_hi_u32_b32 v45, v43, v45
	v_cmp_eq_u32_e32 vcc, 0, v45
	s_and_saveexec_b64 s[6:7], vcc
	s_cbranch_execz .LBB17_8
; %bb.7:                                ;   in Loop: Header=BB17_2 Depth=1
	v_bcnt_u32_b32 v44, v44, 0
	v_bcnt_u32_b32 v43, v43, v44
	buffer_load_dword v44, off, s[96:99], 0 offset:724 ; 4-byte Folded Reload
	s_waitcnt vmcnt(0)
	ds_add_u32 v44, v43
.LBB17_8:                               ;   in Loop: Header=BB17_2 Depth=1
	s_or_b64 exec, exec, s[6:7]
	v_cndmask_b32_e64 v43, 0, 1, s[72:73]
	v_cmp_ne_u32_e32 vcc, 0, v43
	buffer_load_dword v43, off, s[96:99], 0 offset:388 ; 4-byte Folded Reload
	buffer_load_dword v44, off, s[96:99], 0 offset:320 ; 4-byte Folded Reload
	;; [unrolled: 1-line block ×3, first 2 shown]
	v_readlane_b32 s6, v124, 37
	v_readlane_b32 s7, v124, 38
	v_cndmask_b32_e64 v45, 0, 1, s[6:7]
	v_readlane_b32 s6, v124, 39
	v_readlane_b32 s7, v124, 40
	s_waitcnt vmcnt(2)
	v_xor_b32_e32 v43, vcc_hi, v43
	s_waitcnt vmcnt(1)
	v_xor_b32_e32 v44, vcc_lo, v44
	v_cmp_ne_u32_e32 vcc, 0, v45
	buffer_load_dword v45, off, s[96:99], 0 offset:508 ; 4-byte Folded Reload
	v_and_b32_e32 v44, exec_lo, v44
	s_waitcnt vmcnt(1)
	v_xor_b32_e32 v46, vcc_lo, v46
	v_and_b32_e32 v43, exec_hi, v43
	v_and_b32_e32 v44, v44, v46
	buffer_load_dword v46, off, s[96:99], 0 offset:72 ; 4-byte Folded Reload
	s_waitcnt vmcnt(1)
	v_xor_b32_e32 v45, vcc_hi, v45
	v_and_b32_e32 v43, v43, v45
	v_cndmask_b32_e64 v45, 0, 1, s[6:7]
	v_cmp_ne_u32_e32 vcc, 0, v45
	buffer_load_dword v45, off, s[96:99], 0 offset:512 ; 4-byte Folded Reload
	s_waitcnt vmcnt(1)
	v_xor_b32_e32 v46, vcc_lo, v46
	v_readlane_b32 s6, v124, 41
	v_and_b32_e32 v44, v44, v46
	v_readlane_b32 s7, v124, 42
	buffer_load_dword v46, off, s[96:99], 0 offset:80 ; 4-byte Folded Reload
	s_waitcnt vmcnt(1)
	v_xor_b32_e32 v45, vcc_hi, v45
	v_and_b32_e32 v43, v43, v45
	v_cndmask_b32_e64 v45, 0, 1, s[6:7]
	v_cmp_ne_u32_e32 vcc, 0, v45
	buffer_load_dword v45, off, s[96:99], 0 offset:516 ; 4-byte Folded Reload
	s_waitcnt vmcnt(1)
	v_xor_b32_e32 v46, vcc_lo, v46
	v_readlane_b32 s6, v124, 43
	v_and_b32_e32 v44, v44, v46
	v_readlane_b32 s7, v124, 44
	;; [unrolled: 12-line block ×6, first 2 shown]
	buffer_load_dword v46, off, s[96:99], 0 offset:120 ; 4-byte Folded Reload
	s_waitcnt vmcnt(1)
	v_xor_b32_e32 v45, vcc_hi, v45
	v_and_b32_e32 v43, v43, v45
	v_cndmask_b32_e64 v45, 0, 1, s[6:7]
	v_cmp_ne_u32_e32 vcc, 0, v45
	buffer_load_dword v45, off, s[96:99], 0 offset:536 ; 4-byte Folded Reload
	s_waitcnt vmcnt(1)
	v_xor_b32_e32 v46, vcc_lo, v46
	v_and_b32_e32 v44, v44, v46
	s_waitcnt vmcnt(0)
	v_xor_b32_e32 v45, vcc_hi, v45
	v_and_b32_e32 v43, v43, v45
	v_mbcnt_lo_u32_b32 v45, v44, 0
	v_mbcnt_hi_u32_b32 v45, v43, v45
	v_cmp_eq_u32_e32 vcc, 0, v45
	s_and_saveexec_b64 s[6:7], vcc
	s_cbranch_execz .LBB17_10
; %bb.9:                                ;   in Loop: Header=BB17_2 Depth=1
	v_bcnt_u32_b32 v44, v44, 0
	v_bcnt_u32_b32 v43, v43, v44
	buffer_load_dword v44, off, s[96:99], 0 offset:728 ; 4-byte Folded Reload
	s_waitcnt vmcnt(0)
	ds_add_u32 v44, v43
.LBB17_10:                              ;   in Loop: Header=BB17_2 Depth=1
	s_or_b64 exec, exec, s[6:7]
	v_cndmask_b32_e64 v43, 0, 1, s[74:75]
	v_cmp_ne_u32_e32 vcc, 0, v43
	buffer_load_dword v43, off, s[96:99], 0 offset:392 ; 4-byte Folded Reload
	buffer_load_dword v44, off, s[96:99], 0 offset:324 ; 4-byte Folded Reload
	;; [unrolled: 1-line block ×3, first 2 shown]
	v_readlane_b32 s6, v124, 53
	v_readlane_b32 s7, v124, 54
	v_cndmask_b32_e64 v45, 0, 1, s[6:7]
	v_readlane_b32 s6, v124, 55
	v_readlane_b32 s7, v124, 56
	s_waitcnt vmcnt(2)
	v_xor_b32_e32 v43, vcc_hi, v43
	s_waitcnt vmcnt(1)
	v_xor_b32_e32 v44, vcc_lo, v44
	v_cmp_ne_u32_e32 vcc, 0, v45
	buffer_load_dword v45, off, s[96:99], 0 offset:540 ; 4-byte Folded Reload
	v_and_b32_e32 v44, exec_lo, v44
	s_waitcnt vmcnt(1)
	v_xor_b32_e32 v46, vcc_lo, v46
	v_and_b32_e32 v43, exec_hi, v43
	v_and_b32_e32 v44, v44, v46
	buffer_load_dword v46, off, s[96:99], 0 offset:136 ; 4-byte Folded Reload
	s_waitcnt vmcnt(1)
	v_xor_b32_e32 v45, vcc_hi, v45
	v_and_b32_e32 v43, v43, v45
	v_cndmask_b32_e64 v45, 0, 1, s[6:7]
	v_cmp_ne_u32_e32 vcc, 0, v45
	buffer_load_dword v45, off, s[96:99], 0 offset:544 ; 4-byte Folded Reload
	s_waitcnt vmcnt(1)
	v_xor_b32_e32 v46, vcc_lo, v46
	v_readlane_b32 s6, v124, 57
	v_and_b32_e32 v44, v44, v46
	v_readlane_b32 s7, v124, 58
	buffer_load_dword v46, off, s[96:99], 0 offset:144 ; 4-byte Folded Reload
	s_waitcnt vmcnt(1)
	v_xor_b32_e32 v45, vcc_hi, v45
	v_and_b32_e32 v43, v43, v45
	v_cndmask_b32_e64 v45, 0, 1, s[6:7]
	v_cmp_ne_u32_e32 vcc, 0, v45
	buffer_load_dword v45, off, s[96:99], 0 offset:548 ; 4-byte Folded Reload
	s_waitcnt vmcnt(1)
	v_xor_b32_e32 v46, vcc_lo, v46
	v_readlane_b32 s6, v124, 59
	v_and_b32_e32 v44, v44, v46
	v_readlane_b32 s7, v124, 60
	;; [unrolled: 12-line block ×6, first 2 shown]
	buffer_load_dword v46, off, s[96:99], 0 offset:164 ; 4-byte Folded Reload
	s_waitcnt vmcnt(1)
	v_xor_b32_e32 v45, vcc_hi, v45
	v_and_b32_e32 v43, v43, v45
	v_cndmask_b32_e64 v45, 0, 1, s[6:7]
	v_cmp_ne_u32_e32 vcc, 0, v45
	buffer_load_dword v45, off, s[96:99], 0 offset:568 ; 4-byte Folded Reload
	s_waitcnt vmcnt(1)
	v_xor_b32_e32 v46, vcc_lo, v46
	v_and_b32_e32 v44, v44, v46
	s_waitcnt vmcnt(0)
	v_xor_b32_e32 v45, vcc_hi, v45
	v_and_b32_e32 v43, v43, v45
	v_mbcnt_lo_u32_b32 v45, v44, 0
	v_mbcnt_hi_u32_b32 v45, v43, v45
	v_cmp_eq_u32_e32 vcc, 0, v45
	s_and_saveexec_b64 s[6:7], vcc
	s_cbranch_execz .LBB17_12
; %bb.11:                               ;   in Loop: Header=BB17_2 Depth=1
	v_bcnt_u32_b32 v44, v44, 0
	v_bcnt_u32_b32 v43, v43, v44
	buffer_load_dword v44, off, s[96:99], 0 offset:732 ; 4-byte Folded Reload
	s_waitcnt vmcnt(0)
	ds_add_u32 v44, v43
.LBB17_12:                              ;   in Loop: Header=BB17_2 Depth=1
	s_or_b64 exec, exec, s[6:7]
	v_cndmask_b32_e64 v43, 0, 1, s[76:77]
	v_cmp_ne_u32_e32 vcc, 0, v43
	buffer_load_dword v43, off, s[96:99], 0 offset:396 ; 4-byte Folded Reload
	buffer_load_dword v44, off, s[96:99], 0 offset:328 ; 4-byte Folded Reload
	;; [unrolled: 1-line block ×3, first 2 shown]
	v_readlane_b32 s6, v125, 5
	v_readlane_b32 s7, v125, 6
	v_cndmask_b32_e64 v45, 0, 1, s[6:7]
	v_readlane_b32 s6, v125, 7
	v_readlane_b32 s7, v125, 8
	s_waitcnt vmcnt(2)
	v_xor_b32_e32 v43, vcc_hi, v43
	s_waitcnt vmcnt(1)
	v_xor_b32_e32 v44, vcc_lo, v44
	v_cmp_ne_u32_e32 vcc, 0, v45
	buffer_load_dword v45, off, s[96:99], 0 offset:572 ; 4-byte Folded Reload
	v_and_b32_e32 v44, exec_lo, v44
	s_waitcnt vmcnt(1)
	v_xor_b32_e32 v46, vcc_lo, v46
	v_and_b32_e32 v43, exec_hi, v43
	v_and_b32_e32 v44, v44, v46
	buffer_load_dword v46, off, s[96:99], 0 offset:172 ; 4-byte Folded Reload
	s_waitcnt vmcnt(1)
	v_xor_b32_e32 v45, vcc_hi, v45
	v_and_b32_e32 v43, v43, v45
	v_cndmask_b32_e64 v45, 0, 1, s[6:7]
	v_cmp_ne_u32_e32 vcc, 0, v45
	buffer_load_dword v45, off, s[96:99], 0 offset:576 ; 4-byte Folded Reload
	s_waitcnt vmcnt(1)
	v_xor_b32_e32 v46, vcc_lo, v46
	v_readlane_b32 s6, v125, 9
	v_and_b32_e32 v44, v44, v46
	v_readlane_b32 s7, v125, 10
	buffer_load_dword v46, off, s[96:99], 0 offset:176 ; 4-byte Folded Reload
	s_waitcnt vmcnt(1)
	v_xor_b32_e32 v45, vcc_hi, v45
	v_and_b32_e32 v43, v43, v45
	v_cndmask_b32_e64 v45, 0, 1, s[6:7]
	v_cmp_ne_u32_e32 vcc, 0, v45
	buffer_load_dword v45, off, s[96:99], 0 offset:580 ; 4-byte Folded Reload
	s_waitcnt vmcnt(1)
	v_xor_b32_e32 v46, vcc_lo, v46
	v_readlane_b32 s6, v125, 11
	v_and_b32_e32 v44, v44, v46
	v_readlane_b32 s7, v125, 12
	;; [unrolled: 12-line block ×6, first 2 shown]
	buffer_load_dword v46, off, s[96:99], 0 offset:196 ; 4-byte Folded Reload
	s_waitcnt vmcnt(1)
	v_xor_b32_e32 v45, vcc_hi, v45
	v_and_b32_e32 v43, v43, v45
	v_cndmask_b32_e64 v45, 0, 1, s[6:7]
	v_cmp_ne_u32_e32 vcc, 0, v45
	buffer_load_dword v45, off, s[96:99], 0 offset:600 ; 4-byte Folded Reload
	s_waitcnt vmcnt(1)
	v_xor_b32_e32 v46, vcc_lo, v46
	v_and_b32_e32 v44, v44, v46
	s_waitcnt vmcnt(0)
	v_xor_b32_e32 v45, vcc_hi, v45
	v_and_b32_e32 v43, v43, v45
	v_mbcnt_lo_u32_b32 v45, v44, 0
	v_mbcnt_hi_u32_b32 v45, v43, v45
	v_cmp_eq_u32_e32 vcc, 0, v45
	s_and_saveexec_b64 s[6:7], vcc
	s_cbranch_execz .LBB17_14
; %bb.13:                               ;   in Loop: Header=BB17_2 Depth=1
	v_bcnt_u32_b32 v44, v44, 0
	v_bcnt_u32_b32 v43, v43, v44
	buffer_load_dword v44, off, s[96:99], 0 offset:736 ; 4-byte Folded Reload
	s_waitcnt vmcnt(0)
	ds_add_u32 v44, v43
.LBB17_14:                              ;   in Loop: Header=BB17_2 Depth=1
	s_or_b64 exec, exec, s[6:7]
	v_cndmask_b32_e64 v43, 0, 1, s[78:79]
	v_cmp_ne_u32_e32 vcc, 0, v43
	buffer_load_dword v43, off, s[96:99], 0 offset:400 ; 4-byte Folded Reload
	buffer_load_dword v44, off, s[96:99], 0 offset:332 ; 4-byte Folded Reload
	;; [unrolled: 1-line block ×3, first 2 shown]
	v_readlane_b32 s6, v125, 21
	v_readlane_b32 s7, v125, 22
	v_cndmask_b32_e64 v45, 0, 1, s[6:7]
	v_readlane_b32 s6, v125, 23
	v_readlane_b32 s7, v125, 24
	s_waitcnt vmcnt(2)
	v_xor_b32_e32 v43, vcc_hi, v43
	s_waitcnt vmcnt(1)
	v_xor_b32_e32 v44, vcc_lo, v44
	v_cmp_ne_u32_e32 vcc, 0, v45
	buffer_load_dword v45, off, s[96:99], 0 offset:604 ; 4-byte Folded Reload
	v_and_b32_e32 v44, exec_lo, v44
	s_waitcnt vmcnt(1)
	v_xor_b32_e32 v46, vcc_lo, v46
	v_and_b32_e32 v43, exec_hi, v43
	v_and_b32_e32 v44, v44, v46
	buffer_load_dword v46, off, s[96:99], 0 offset:204 ; 4-byte Folded Reload
	s_waitcnt vmcnt(1)
	v_xor_b32_e32 v45, vcc_hi, v45
	v_and_b32_e32 v43, v43, v45
	v_cndmask_b32_e64 v45, 0, 1, s[6:7]
	v_cmp_ne_u32_e32 vcc, 0, v45
	buffer_load_dword v45, off, s[96:99], 0 offset:608 ; 4-byte Folded Reload
	s_waitcnt vmcnt(1)
	v_xor_b32_e32 v46, vcc_lo, v46
	v_readlane_b32 s6, v125, 25
	v_and_b32_e32 v44, v44, v46
	v_readlane_b32 s7, v125, 26
	buffer_load_dword v46, off, s[96:99], 0 offset:208 ; 4-byte Folded Reload
	s_waitcnt vmcnt(1)
	v_xor_b32_e32 v45, vcc_hi, v45
	v_and_b32_e32 v43, v43, v45
	v_cndmask_b32_e64 v45, 0, 1, s[6:7]
	v_cmp_ne_u32_e32 vcc, 0, v45
	buffer_load_dword v45, off, s[96:99], 0 offset:612 ; 4-byte Folded Reload
	s_waitcnt vmcnt(1)
	v_xor_b32_e32 v46, vcc_lo, v46
	v_readlane_b32 s6, v125, 27
	v_and_b32_e32 v44, v44, v46
	v_readlane_b32 s7, v125, 28
	;; [unrolled: 12-line block ×6, first 2 shown]
	buffer_load_dword v46, off, s[96:99], 0 offset:228 ; 4-byte Folded Reload
	s_waitcnt vmcnt(1)
	v_xor_b32_e32 v45, vcc_hi, v45
	v_and_b32_e32 v43, v43, v45
	v_cndmask_b32_e64 v45, 0, 1, s[6:7]
	v_cmp_ne_u32_e32 vcc, 0, v45
	buffer_load_dword v45, off, s[96:99], 0 offset:632 ; 4-byte Folded Reload
	s_waitcnt vmcnt(1)
	v_xor_b32_e32 v46, vcc_lo, v46
	v_and_b32_e32 v44, v44, v46
	s_waitcnt vmcnt(0)
	v_xor_b32_e32 v45, vcc_hi, v45
	v_and_b32_e32 v43, v43, v45
	v_mbcnt_lo_u32_b32 v45, v44, 0
	v_mbcnt_hi_u32_b32 v45, v43, v45
	v_cmp_eq_u32_e32 vcc, 0, v45
	s_and_saveexec_b64 s[6:7], vcc
	s_cbranch_execz .LBB17_16
; %bb.15:                               ;   in Loop: Header=BB17_2 Depth=1
	v_bcnt_u32_b32 v44, v44, 0
	v_bcnt_u32_b32 v43, v43, v44
	buffer_load_dword v44, off, s[96:99], 0 offset:740 ; 4-byte Folded Reload
	s_waitcnt vmcnt(0)
	ds_add_u32 v44, v43
.LBB17_16:                              ;   in Loop: Header=BB17_2 Depth=1
	s_or_b64 exec, exec, s[6:7]
	v_cndmask_b32_e64 v43, 0, 1, s[80:81]
	v_cmp_ne_u32_e32 vcc, 0, v43
	buffer_load_dword v43, off, s[96:99], 0 offset:404 ; 4-byte Folded Reload
	buffer_load_dword v44, off, s[96:99], 0 offset:336 ; 4-byte Folded Reload
	;; [unrolled: 1-line block ×3, first 2 shown]
	v_readlane_b32 s6, v125, 37
	v_readlane_b32 s7, v125, 38
	v_cndmask_b32_e64 v45, 0, 1, s[6:7]
	v_readlane_b32 s6, v125, 39
	v_readlane_b32 s7, v125, 40
	s_waitcnt vmcnt(2)
	v_xor_b32_e32 v43, vcc_hi, v43
	s_waitcnt vmcnt(1)
	v_xor_b32_e32 v44, vcc_lo, v44
	v_cmp_ne_u32_e32 vcc, 0, v45
	buffer_load_dword v45, off, s[96:99], 0 offset:636 ; 4-byte Folded Reload
	v_and_b32_e32 v44, exec_lo, v44
	s_waitcnt vmcnt(1)
	v_xor_b32_e32 v46, vcc_lo, v46
	v_and_b32_e32 v43, exec_hi, v43
	v_and_b32_e32 v44, v44, v46
	buffer_load_dword v46, off, s[96:99], 0 offset:236 ; 4-byte Folded Reload
	s_waitcnt vmcnt(1)
	v_xor_b32_e32 v45, vcc_hi, v45
	v_and_b32_e32 v43, v43, v45
	v_cndmask_b32_e64 v45, 0, 1, s[6:7]
	v_cmp_ne_u32_e32 vcc, 0, v45
	buffer_load_dword v45, off, s[96:99], 0 offset:640 ; 4-byte Folded Reload
	s_waitcnt vmcnt(1)
	v_xor_b32_e32 v46, vcc_lo, v46
	v_readlane_b32 s6, v125, 41
	v_and_b32_e32 v44, v44, v46
	v_readlane_b32 s7, v125, 42
	buffer_load_dword v46, off, s[96:99], 0 offset:240 ; 4-byte Folded Reload
	s_waitcnt vmcnt(1)
	v_xor_b32_e32 v45, vcc_hi, v45
	v_and_b32_e32 v43, v43, v45
	v_cndmask_b32_e64 v45, 0, 1, s[6:7]
	v_cmp_ne_u32_e32 vcc, 0, v45
	buffer_load_dword v45, off, s[96:99], 0 offset:644 ; 4-byte Folded Reload
	s_waitcnt vmcnt(1)
	v_xor_b32_e32 v46, vcc_lo, v46
	v_readlane_b32 s6, v125, 43
	v_and_b32_e32 v44, v44, v46
	v_readlane_b32 s7, v125, 44
	;; [unrolled: 12-line block ×6, first 2 shown]
	buffer_load_dword v46, off, s[96:99], 0 offset:260 ; 4-byte Folded Reload
	s_waitcnt vmcnt(1)
	v_xor_b32_e32 v45, vcc_hi, v45
	v_and_b32_e32 v43, v43, v45
	v_cndmask_b32_e64 v45, 0, 1, s[6:7]
	v_cmp_ne_u32_e32 vcc, 0, v45
	buffer_load_dword v45, off, s[96:99], 0 offset:664 ; 4-byte Folded Reload
	s_waitcnt vmcnt(1)
	v_xor_b32_e32 v46, vcc_lo, v46
	v_and_b32_e32 v44, v44, v46
	s_waitcnt vmcnt(0)
	v_xor_b32_e32 v45, vcc_hi, v45
	v_and_b32_e32 v43, v43, v45
	v_mbcnt_lo_u32_b32 v45, v44, 0
	v_mbcnt_hi_u32_b32 v45, v43, v45
	v_cmp_eq_u32_e32 vcc, 0, v45
	s_and_saveexec_b64 s[6:7], vcc
	s_cbranch_execz .LBB17_18
; %bb.17:                               ;   in Loop: Header=BB17_2 Depth=1
	v_bcnt_u32_b32 v44, v44, 0
	v_bcnt_u32_b32 v43, v43, v44
	buffer_load_dword v44, off, s[96:99], 0 offset:744 ; 4-byte Folded Reload
	s_waitcnt vmcnt(0)
	ds_add_u32 v44, v43
.LBB17_18:                              ;   in Loop: Header=BB17_2 Depth=1
	s_or_b64 exec, exec, s[6:7]
	v_cndmask_b32_e64 v43, 0, 1, s[82:83]
	v_cmp_ne_u32_e32 vcc, 0, v43
	buffer_load_dword v43, off, s[96:99], 0 offset:408 ; 4-byte Folded Reload
	buffer_load_dword v44, off, s[96:99], 0 offset:340 ; 4-byte Folded Reload
	;; [unrolled: 1-line block ×3, first 2 shown]
	v_readlane_b32 s6, v125, 53
	v_readlane_b32 s7, v125, 54
	v_cndmask_b32_e64 v45, 0, 1, s[6:7]
	v_readlane_b32 s6, v125, 55
	v_readlane_b32 s7, v125, 56
	s_waitcnt vmcnt(2)
	v_xor_b32_e32 v43, vcc_hi, v43
	s_waitcnt vmcnt(1)
	v_xor_b32_e32 v44, vcc_lo, v44
	v_cmp_ne_u32_e32 vcc, 0, v45
	buffer_load_dword v45, off, s[96:99], 0 offset:668 ; 4-byte Folded Reload
	v_and_b32_e32 v44, exec_lo, v44
	s_waitcnt vmcnt(1)
	v_xor_b32_e32 v46, vcc_lo, v46
	v_and_b32_e32 v43, exec_hi, v43
	v_and_b32_e32 v44, v44, v46
	buffer_load_dword v46, off, s[96:99], 0 offset:268 ; 4-byte Folded Reload
	s_waitcnt vmcnt(1)
	v_xor_b32_e32 v45, vcc_hi, v45
	v_and_b32_e32 v43, v43, v45
	v_cndmask_b32_e64 v45, 0, 1, s[6:7]
	v_cmp_ne_u32_e32 vcc, 0, v45
	buffer_load_dword v45, off, s[96:99], 0 offset:672 ; 4-byte Folded Reload
	s_waitcnt vmcnt(1)
	v_xor_b32_e32 v46, vcc_lo, v46
	v_readlane_b32 s6, v125, 57
	v_and_b32_e32 v44, v44, v46
	v_readlane_b32 s7, v125, 58
	buffer_load_dword v46, off, s[96:99], 0 offset:272 ; 4-byte Folded Reload
	s_waitcnt vmcnt(1)
	v_xor_b32_e32 v45, vcc_hi, v45
	v_and_b32_e32 v43, v43, v45
	v_cndmask_b32_e64 v45, 0, 1, s[6:7]
	v_cmp_ne_u32_e32 vcc, 0, v45
	buffer_load_dword v45, off, s[96:99], 0 offset:676 ; 4-byte Folded Reload
	s_waitcnt vmcnt(1)
	v_xor_b32_e32 v46, vcc_lo, v46
	v_readlane_b32 s6, v125, 59
	v_and_b32_e32 v44, v44, v46
	v_readlane_b32 s7, v125, 60
	;; [unrolled: 12-line block ×6, first 2 shown]
	buffer_load_dword v46, off, s[96:99], 0 offset:292 ; 4-byte Folded Reload
	s_waitcnt vmcnt(1)
	v_xor_b32_e32 v45, vcc_hi, v45
	v_and_b32_e32 v43, v43, v45
	v_cndmask_b32_e64 v45, 0, 1, s[6:7]
	v_cmp_ne_u32_e32 vcc, 0, v45
	buffer_load_dword v45, off, s[96:99], 0 offset:696 ; 4-byte Folded Reload
	s_waitcnt vmcnt(1)
	v_xor_b32_e32 v46, vcc_lo, v46
	v_and_b32_e32 v44, v44, v46
	s_waitcnt vmcnt(0)
	v_xor_b32_e32 v45, vcc_hi, v45
	v_and_b32_e32 v43, v43, v45
	v_mbcnt_lo_u32_b32 v45, v44, 0
	v_mbcnt_hi_u32_b32 v45, v43, v45
	v_cmp_eq_u32_e32 vcc, 0, v45
	s_and_saveexec_b64 s[6:7], vcc
	s_cbranch_execz .LBB17_20
; %bb.19:                               ;   in Loop: Header=BB17_2 Depth=1
	v_bcnt_u32_b32 v44, v44, 0
	v_bcnt_u32_b32 v43, v43, v44
	buffer_load_dword v44, off, s[96:99], 0 offset:748 ; 4-byte Folded Reload
	s_waitcnt vmcnt(0)
	ds_add_u32 v44, v43
.LBB17_20:                              ;   in Loop: Header=BB17_2 Depth=1
	s_or_b64 exec, exec, s[6:7]
	v_cndmask_b32_e64 v43, 0, 1, s[84:85]
	v_cmp_ne_u32_e32 vcc, 0, v43
	buffer_load_dword v43, off, s[96:99], 0 offset:412 ; 4-byte Folded Reload
	buffer_load_dword v44, off, s[96:99], 0 offset:344 ; 4-byte Folded Reload
	;; [unrolled: 1-line block ×3, first 2 shown]
	v_readlane_b32 s6, v126, 5
	v_readlane_b32 s7, v126, 6
	v_cndmask_b32_e64 v45, 0, 1, s[6:7]
	v_readlane_b32 s6, v126, 7
	v_readlane_b32 s7, v126, 8
	s_waitcnt vmcnt(2)
	v_xor_b32_e32 v43, vcc_hi, v43
	s_waitcnt vmcnt(1)
	v_xor_b32_e32 v44, vcc_lo, v44
	v_cmp_ne_u32_e32 vcc, 0, v45
	buffer_load_dword v45, off, s[96:99], 0 offset:700 ; 4-byte Folded Reload
	v_and_b32_e32 v44, exec_lo, v44
	s_waitcnt vmcnt(1)
	v_xor_b32_e32 v46, vcc_lo, v46
	v_and_b32_e32 v44, v44, v46
	buffer_load_dword v46, off, s[96:99], 0 offset:300 ; 4-byte Folded Reload
	v_and_b32_e32 v43, exec_hi, v43
	s_waitcnt vmcnt(1)
	v_xor_b32_e32 v45, vcc_hi, v45
	v_and_b32_e32 v43, v43, v45
	v_cndmask_b32_e64 v45, 0, 1, s[6:7]
	v_cmp_ne_u32_e32 vcc, 0, v45
	buffer_load_dword v45, off, s[96:99], 0 offset:704 ; 4-byte Folded Reload
	s_waitcnt vmcnt(1)
	v_xor_b32_e32 v46, vcc_lo, v46
	v_and_b32_e32 v44, v44, v46
	buffer_load_dword v46, off, s[96:99], 0 offset:304 ; 4-byte Folded Reload
	v_readlane_b32 s6, v126, 9
	v_readlane_b32 s7, v126, 10
	s_waitcnt vmcnt(1)
	v_xor_b32_e32 v45, vcc_hi, v45
	v_and_b32_e32 v43, v43, v45
	v_cndmask_b32_e64 v45, 0, 1, s[6:7]
	v_cmp_ne_u32_e32 vcc, 0, v45
	buffer_load_dword v45, off, s[96:99], 0 offset:708 ; 4-byte Folded Reload
	s_waitcnt vmcnt(1)
	v_xor_b32_e32 v46, vcc_lo, v46
	v_and_b32_e32 v44, v44, v46
	buffer_load_dword v46, off, s[96:99], 0 offset:308 ; 4-byte Folded Reload
	v_readlane_b32 s6, v126, 11
	v_readlane_b32 s7, v126, 12
	;; [unrolled: 12-line block ×3, first 2 shown]
	s_waitcnt vmcnt(1)
	v_xor_b32_e32 v45, vcc_hi, v45
	v_and_b32_e32 v43, v43, v45
	v_cndmask_b32_e64 v45, 0, 1, s[6:7]
	v_cmp_ne_u32_e32 vcc, 0, v45
	v_readlane_b32 s6, v126, 15
	v_xor_b32_e32 v45, vcc_hi, v9
	v_readlane_b32 s7, v126, 16
	v_and_b32_e32 v43, v43, v45
	v_cndmask_b32_e64 v45, 0, 1, s[6:7]
	s_waitcnt vmcnt(0)
	v_xor_b32_e32 v46, vcc_lo, v46
	v_cmp_ne_u32_e32 vcc, 0, v45
	v_readlane_b32 s6, v126, 17
	v_xor_b32_e32 v45, vcc_hi, v91
	v_readlane_b32 s7, v126, 18
	v_and_b32_e32 v43, v43, v45
	v_cndmask_b32_e64 v45, 0, 1, s[6:7]
	v_and_b32_e32 v44, v44, v46
	v_xor_b32_e32 v46, vcc_lo, v54
	v_cmp_ne_u32_e32 vcc, 0, v45
	v_readlane_b32 s6, v126, 19
	v_xor_b32_e32 v45, vcc_hi, v93
	v_readlane_b32 s7, v126, 20
	v_and_b32_e32 v43, v43, v45
	v_cndmask_b32_e64 v45, 0, 1, s[6:7]
	v_and_b32_e32 v44, v44, v46
	v_xor_b32_e32 v46, vcc_lo, v13
	v_cmp_ne_u32_e32 vcc, 0, v45
	v_and_b32_e32 v44, v44, v46
	v_xor_b32_e32 v46, vcc_lo, v59
	v_xor_b32_e32 v45, vcc_hi, v21
	v_and_b32_e32 v44, v44, v46
	v_and_b32_e32 v43, v43, v45
	v_mbcnt_lo_u32_b32 v45, v44, 0
	v_mbcnt_hi_u32_b32 v45, v43, v45
	v_cmp_eq_u32_e32 vcc, 0, v45
	s_and_saveexec_b64 s[6:7], vcc
	s_cbranch_execz .LBB17_22
; %bb.21:                               ;   in Loop: Header=BB17_2 Depth=1
	v_bcnt_u32_b32 v44, v44, 0
	v_bcnt_u32_b32 v43, v43, v44
	buffer_load_dword v44, off, s[96:99], 0 offset:752 ; 4-byte Folded Reload
	s_waitcnt vmcnt(0)
	ds_add_u32 v44, v43
.LBB17_22:                              ;   in Loop: Header=BB17_2 Depth=1
	s_or_b64 exec, exec, s[6:7]
	v_cndmask_b32_e64 v43, 0, 1, s[86:87]
	v_cmp_ne_u32_e32 vcc, 0, v43
	buffer_load_dword v43, off, s[96:99], 0 offset:416 ; 4-byte Folded Reload
	buffer_load_dword v44, off, s[96:99], 0 offset:348 ; 4-byte Folded Reload
	v_readlane_b32 s6, v126, 21
	v_readlane_b32 s7, v126, 22
	v_cndmask_b32_e64 v45, 0, 1, s[6:7]
	v_readlane_b32 s6, v126, 23
	v_readlane_b32 s7, v126, 24
	s_waitcnt vmcnt(1)
	v_xor_b32_e32 v43, vcc_hi, v43
	s_waitcnt vmcnt(0)
	v_xor_b32_e32 v44, vcc_lo, v44
	v_cmp_ne_u32_e32 vcc, 0, v45
	v_and_b32_e32 v43, exec_hi, v43
	v_xor_b32_e32 v45, vcc_hi, v94
	v_and_b32_e32 v43, v43, v45
	v_cndmask_b32_e64 v45, 0, 1, s[6:7]
	v_xor_b32_e32 v46, vcc_lo, v70
	v_cmp_ne_u32_e32 vcc, 0, v45
	v_readlane_b32 s6, v126, 25
	v_xor_b32_e32 v45, vcc_hi, v22
	v_readlane_b32 s7, v126, 26
	v_and_b32_e32 v44, exec_lo, v44
	v_and_b32_e32 v43, v43, v45
	v_cndmask_b32_e64 v45, 0, 1, s[6:7]
	v_and_b32_e32 v44, v44, v46
	v_xor_b32_e32 v46, vcc_lo, v47
	v_cmp_ne_u32_e32 vcc, 0, v45
	v_readlane_b32 s6, v126, 27
	v_xor_b32_e32 v45, vcc_hi, v95
	v_readlane_b32 s7, v126, 28
	v_and_b32_e32 v43, v43, v45
	v_cndmask_b32_e64 v45, 0, 1, s[6:7]
	v_and_b32_e32 v44, v44, v46
	v_xor_b32_e32 v46, vcc_lo, v71
	v_cmp_ne_u32_e32 vcc, 0, v45
	v_readlane_b32 s6, v126, 29
	v_xor_b32_e32 v45, vcc_hi, v23
	v_readlane_b32 s7, v126, 30
	;; [unrolled: 8-line block ×5, first 2 shown]
	v_and_b32_e32 v43, v43, v45
	v_cndmask_b32_e64 v45, 0, 1, s[6:7]
	v_and_b32_e32 v44, v44, v46
	v_xor_b32_e32 v46, vcc_lo, v72
	v_cmp_ne_u32_e32 vcc, 0, v45
	v_and_b32_e32 v44, v44, v46
	v_xor_b32_e32 v46, vcc_lo, v8
	v_xor_b32_e32 v45, vcc_hi, v25
	v_and_b32_e32 v44, v44, v46
	v_and_b32_e32 v43, v43, v45
	v_mbcnt_lo_u32_b32 v45, v44, 0
	v_mbcnt_hi_u32_b32 v45, v43, v45
	v_cmp_eq_u32_e32 vcc, 0, v45
	s_and_saveexec_b64 s[6:7], vcc
	s_cbranch_execz .LBB17_24
; %bb.23:                               ;   in Loop: Header=BB17_2 Depth=1
	v_bcnt_u32_b32 v44, v44, 0
	v_bcnt_u32_b32 v43, v43, v44
	buffer_load_dword v44, off, s[96:99], 0 offset:756 ; 4-byte Folded Reload
	s_waitcnt vmcnt(0)
	ds_add_u32 v44, v43
.LBB17_24:                              ;   in Loop: Header=BB17_2 Depth=1
	s_or_b64 exec, exec, s[6:7]
	v_cndmask_b32_e64 v43, 0, 1, s[88:89]
	v_cmp_ne_u32_e32 vcc, 0, v43
	buffer_load_dword v43, off, s[96:99], 0 offset:420 ; 4-byte Folded Reload
	buffer_load_dword v44, off, s[96:99], 0 offset:352 ; 4-byte Folded Reload
	v_readlane_b32 s6, v126, 37
	v_readlane_b32 s7, v126, 38
	v_cndmask_b32_e64 v45, 0, 1, s[6:7]
	v_readlane_b32 s6, v126, 39
	v_readlane_b32 s7, v126, 40
	s_waitcnt vmcnt(1)
	v_xor_b32_e32 v43, vcc_hi, v43
	s_waitcnt vmcnt(0)
	v_xor_b32_e32 v44, vcc_lo, v44
	v_cmp_ne_u32_e32 vcc, 0, v45
	v_and_b32_e32 v43, exec_hi, v43
	v_xor_b32_e32 v45, vcc_hi, v98
	v_and_b32_e32 v43, v43, v45
	v_cndmask_b32_e64 v45, 0, 1, s[6:7]
	v_xor_b32_e32 v46, vcc_lo, v73
	v_cmp_ne_u32_e32 vcc, 0, v45
	v_readlane_b32 s6, v126, 41
	v_xor_b32_e32 v45, vcc_hi, v99
	v_readlane_b32 s7, v126, 42
	v_and_b32_e32 v44, exec_lo, v44
	v_and_b32_e32 v43, v43, v45
	v_cndmask_b32_e64 v45, 0, 1, s[6:7]
	v_and_b32_e32 v44, v44, v46
	v_xor_b32_e32 v46, vcc_lo, v51
	v_cmp_ne_u32_e32 vcc, 0, v45
	v_readlane_b32 s6, v126, 43
	v_xor_b32_e32 v45, vcc_hi, v100
	v_readlane_b32 s7, v126, 44
	v_and_b32_e32 v43, v43, v45
	v_cndmask_b32_e64 v45, 0, 1, s[6:7]
	v_and_b32_e32 v44, v44, v46
	v_xor_b32_e32 v46, vcc_lo, v15
	v_cmp_ne_u32_e32 vcc, 0, v45
	v_readlane_b32 s6, v126, 45
	v_xor_b32_e32 v45, vcc_hi, v26
	v_readlane_b32 s7, v126, 46
	;; [unrolled: 8-line block ×5, first 2 shown]
	v_and_b32_e32 v43, v43, v45
	v_cndmask_b32_e64 v45, 0, 1, s[6:7]
	v_and_b32_e32 v44, v44, v46
	v_xor_b32_e32 v46, vcc_lo, v75
	v_cmp_ne_u32_e32 vcc, 0, v45
	v_and_b32_e32 v44, v44, v46
	v_xor_b32_e32 v46, vcc_lo, v62
	v_xor_b32_e32 v45, vcc_hi, v27
	v_and_b32_e32 v44, v44, v46
	v_and_b32_e32 v43, v43, v45
	v_mbcnt_lo_u32_b32 v45, v44, 0
	v_mbcnt_hi_u32_b32 v45, v43, v45
	v_cmp_eq_u32_e32 vcc, 0, v45
	s_and_saveexec_b64 s[6:7], vcc
	s_cbranch_execz .LBB17_26
; %bb.25:                               ;   in Loop: Header=BB17_2 Depth=1
	v_bcnt_u32_b32 v44, v44, 0
	v_bcnt_u32_b32 v43, v43, v44
	buffer_load_dword v44, off, s[96:99], 0 offset:760 ; 4-byte Folded Reload
	s_waitcnt vmcnt(0)
	ds_add_u32 v44, v43
.LBB17_26:                              ;   in Loop: Header=BB17_2 Depth=1
	s_or_b64 exec, exec, s[6:7]
	v_cndmask_b32_e64 v43, 0, 1, s[90:91]
	v_cmp_ne_u32_e32 vcc, 0, v43
	buffer_load_dword v43, off, s[96:99], 0 offset:424 ; 4-byte Folded Reload
	buffer_load_dword v44, off, s[96:99], 0 offset:356 ; 4-byte Folded Reload
	v_readlane_b32 s6, v126, 53
	v_readlane_b32 s7, v126, 54
	v_cndmask_b32_e64 v45, 0, 1, s[6:7]
	v_readlane_b32 s6, v126, 55
	v_readlane_b32 s7, v126, 56
	s_waitcnt vmcnt(1)
	v_xor_b32_e32 v43, vcc_hi, v43
	s_waitcnt vmcnt(0)
	v_xor_b32_e32 v44, vcc_lo, v44
	v_cmp_ne_u32_e32 vcc, 0, v45
	v_and_b32_e32 v43, exec_hi, v43
	v_xor_b32_e32 v45, vcc_hi, v104
	v_and_b32_e32 v43, v43, v45
	v_cndmask_b32_e64 v45, 0, 1, s[6:7]
	v_xor_b32_e32 v46, vcc_lo, v16
	v_cmp_ne_u32_e32 vcc, 0, v45
	v_readlane_b32 s6, v126, 57
	v_xor_b32_e32 v45, vcc_hi, v105
	v_readlane_b32 s7, v126, 58
	v_and_b32_e32 v44, exec_lo, v44
	v_and_b32_e32 v43, v43, v45
	v_cndmask_b32_e64 v45, 0, 1, s[6:7]
	v_and_b32_e32 v44, v44, v46
	v_xor_b32_e32 v46, vcc_lo, v49
	v_cmp_ne_u32_e32 vcc, 0, v45
	v_readlane_b32 s6, v126, 59
	v_xor_b32_e32 v45, vcc_hi, v107
	v_readlane_b32 s7, v126, 60
	v_and_b32_e32 v43, v43, v45
	v_cndmask_b32_e64 v45, 0, 1, s[6:7]
	v_and_b32_e32 v44, v44, v46
	v_xor_b32_e32 v46, vcc_lo, v76
	v_cmp_ne_u32_e32 vcc, 0, v45
	v_readlane_b32 s6, v126, 61
	v_xor_b32_e32 v45, vcc_hi, v28
	v_readlane_b32 s7, v126, 62
	;; [unrolled: 8-line block ×5, first 2 shown]
	v_and_b32_e32 v43, v43, v45
	v_cndmask_b32_e64 v45, 0, 1, s[6:7]
	v_and_b32_e32 v44, v44, v46
	v_xor_b32_e32 v46, vcc_lo, v17
	v_cmp_ne_u32_e32 vcc, 0, v45
	v_and_b32_e32 v44, v44, v46
	v_xor_b32_e32 v46, vcc_lo, v63
	v_xor_b32_e32 v45, vcc_hi, v29
	v_and_b32_e32 v44, v44, v46
	v_and_b32_e32 v43, v43, v45
	v_mbcnt_lo_u32_b32 v45, v44, 0
	v_mbcnt_hi_u32_b32 v45, v43, v45
	v_cmp_eq_u32_e32 vcc, 0, v45
	s_and_saveexec_b64 s[6:7], vcc
	s_cbranch_execz .LBB17_28
; %bb.27:                               ;   in Loop: Header=BB17_2 Depth=1
	v_bcnt_u32_b32 v44, v44, 0
	v_bcnt_u32_b32 v43, v43, v44
	buffer_load_dword v44, off, s[96:99], 0 offset:764 ; 4-byte Folded Reload
	s_waitcnt vmcnt(0)
	ds_add_u32 v44, v43
.LBB17_28:                              ;   in Loop: Header=BB17_2 Depth=1
	s_or_b64 exec, exec, s[6:7]
	v_cndmask_b32_e64 v43, 0, 1, s[92:93]
	v_cmp_ne_u32_e32 vcc, 0, v43
	buffer_load_dword v43, off, s[96:99], 0 offset:428 ; 4-byte Folded Reload
	buffer_load_dword v44, off, s[96:99], 0 offset:360 ; 4-byte Folded Reload
	v_readlane_b32 s6, v127, 5
	v_readlane_b32 s7, v127, 6
	v_cndmask_b32_e64 v45, 0, 1, s[6:7]
	v_readlane_b32 s6, v127, 7
	v_readlane_b32 s7, v127, 8
	s_waitcnt vmcnt(1)
	v_xor_b32_e32 v43, vcc_hi, v43
	s_waitcnt vmcnt(0)
	v_xor_b32_e32 v44, vcc_lo, v44
	v_cmp_ne_u32_e32 vcc, 0, v45
	v_and_b32_e32 v43, exec_hi, v43
	v_xor_b32_e32 v45, vcc_hi, v118
	v_and_b32_e32 v43, v43, v45
	v_cndmask_b32_e64 v45, 0, 1, s[6:7]
	v_xor_b32_e32 v46, vcc_lo, v78
	v_cmp_ne_u32_e32 vcc, 0, v45
	v_readlane_b32 s6, v127, 9
	v_xor_b32_e32 v45, vcc_hi, v119
	v_readlane_b32 s7, v127, 10
	v_and_b32_e32 v44, exec_lo, v44
	v_and_b32_e32 v43, v43, v45
	v_cndmask_b32_e64 v45, 0, 1, s[6:7]
	v_and_b32_e32 v44, v44, v46
	v_xor_b32_e32 v46, vcc_lo, v52
	v_cmp_ne_u32_e32 vcc, 0, v45
	v_readlane_b32 s6, v127, 11
	v_xor_b32_e32 v45, vcc_hi, v120
	v_readlane_b32 s7, v127, 12
	v_and_b32_e32 v43, v43, v45
	v_cndmask_b32_e64 v45, 0, 1, s[6:7]
	v_and_b32_e32 v44, v44, v46
	v_xor_b32_e32 v46, vcc_lo, v79
	v_cmp_ne_u32_e32 vcc, 0, v45
	v_readlane_b32 s6, v127, 13
	v_xor_b32_e32 v45, vcc_hi, v30
	v_readlane_b32 s7, v127, 14
	;; [unrolled: 8-line block ×5, first 2 shown]
	v_and_b32_e32 v43, v43, v45
	v_cndmask_b32_e64 v45, 0, 1, s[6:7]
	v_and_b32_e32 v44, v44, v46
	v_xor_b32_e32 v46, vcc_lo, v81
	v_cmp_ne_u32_e32 vcc, 0, v45
	v_and_b32_e32 v44, v44, v46
	v_xor_b32_e32 v46, vcc_lo, v11
	v_xor_b32_e32 v45, vcc_hi, v31
	v_and_b32_e32 v44, v44, v46
	v_and_b32_e32 v43, v43, v45
	v_mbcnt_lo_u32_b32 v45, v44, 0
	v_mbcnt_hi_u32_b32 v45, v43, v45
	v_cmp_eq_u32_e32 vcc, 0, v45
	s_and_saveexec_b64 s[6:7], vcc
	s_cbranch_execz .LBB17_30
; %bb.29:                               ;   in Loop: Header=BB17_2 Depth=1
	v_bcnt_u32_b32 v44, v44, 0
	v_bcnt_u32_b32 v43, v43, v44
	buffer_load_dword v44, off, s[96:99], 0 offset:768 ; 4-byte Folded Reload
	s_waitcnt vmcnt(0)
	ds_add_u32 v44, v43
.LBB17_30:                              ;   in Loop: Header=BB17_2 Depth=1
	s_or_b64 exec, exec, s[6:7]
	v_cndmask_b32_e64 v43, 0, 1, s[94:95]
	v_cmp_ne_u32_e32 vcc, 0, v43
	buffer_load_dword v43, off, s[96:99], 0 offset:432 ; 4-byte Folded Reload
	buffer_load_dword v44, off, s[96:99], 0 offset:364 ; 4-byte Folded Reload
	v_readlane_b32 s6, v127, 21
	v_readlane_b32 s7, v127, 22
	v_cndmask_b32_e64 v45, 0, 1, s[6:7]
	v_readlane_b32 s6, v127, 23
	v_readlane_b32 s7, v127, 24
	s_waitcnt vmcnt(1)
	v_xor_b32_e32 v43, vcc_hi, v43
	s_waitcnt vmcnt(0)
	v_xor_b32_e32 v44, vcc_lo, v44
	v_cmp_ne_u32_e32 vcc, 0, v45
	v_and_b32_e32 v43, exec_hi, v43
	v_xor_b32_e32 v45, vcc_hi, v106
	v_and_b32_e32 v43, v43, v45
	v_cndmask_b32_e64 v45, 0, 1, s[6:7]
	v_xor_b32_e32 v46, vcc_lo, v18
	v_cmp_ne_u32_e32 vcc, 0, v45
	v_readlane_b32 s6, v127, 25
	v_xor_b32_e32 v45, vcc_hi, v111
	v_readlane_b32 s7, v127, 26
	v_and_b32_e32 v44, exec_lo, v44
	v_and_b32_e32 v43, v43, v45
	v_cndmask_b32_e64 v45, 0, 1, s[6:7]
	v_and_b32_e32 v44, v44, v46
	v_xor_b32_e32 v46, vcc_lo, v48
	v_cmp_ne_u32_e32 vcc, 0, v45
	v_readlane_b32 s6, v127, 27
	v_xor_b32_e32 v45, vcc_hi, v112
	v_readlane_b32 s7, v127, 28
	v_and_b32_e32 v43, v43, v45
	v_cndmask_b32_e64 v45, 0, 1, s[6:7]
	v_and_b32_e32 v44, v44, v46
	v_xor_b32_e32 v46, vcc_lo, v82
	v_cmp_ne_u32_e32 vcc, 0, v45
	v_readlane_b32 s6, v127, 29
	v_xor_b32_e32 v45, vcc_hi, v113
	v_readlane_b32 s7, v127, 30
	v_and_b32_e32 v43, v43, v45
	v_cndmask_b32_e64 v45, 0, 1, s[6:7]
	v_and_b32_e32 v44, v44, v46
	v_xor_b32_e32 v46, vcc_lo, v65
	v_cmp_ne_u32_e32 vcc, 0, v45
	v_xor_b32_e32 v45, vcc_hi, v32
	v_and_b32_e32 v43, v43, v45
	v_cndmask_b32_e64 v45, 0, 1, s[28:29]
	v_and_b32_e32 v44, v44, v46
	v_xor_b32_e32 v46, vcc_lo, v83
	v_cmp_ne_u32_e32 vcc, 0, v45
	v_xor_b32_e32 v45, vcc_hi, v114
	;; [unrolled: 6-line block ×3, first 2 shown]
	v_and_b32_e32 v43, v43, v45
	v_cndmask_b32_e64 v45, 0, 1, s[34:35]
	v_and_b32_e32 v44, v44, v46
	v_xor_b32_e32 v46, vcc_lo, v84
	v_cmp_ne_u32_e32 vcc, 0, v45
	v_and_b32_e32 v44, v44, v46
	v_xor_b32_e32 v46, vcc_lo, v66
	v_xor_b32_e32 v45, vcc_hi, v116
	v_and_b32_e32 v44, v44, v46
	v_and_b32_e32 v43, v43, v45
	v_mbcnt_lo_u32_b32 v45, v44, 0
	v_mbcnt_hi_u32_b32 v45, v43, v45
	v_cmp_eq_u32_e32 vcc, 0, v45
	s_and_saveexec_b64 s[6:7], vcc
	s_cbranch_execz .LBB17_32
; %bb.31:                               ;   in Loop: Header=BB17_2 Depth=1
	v_bcnt_u32_b32 v44, v44, 0
	v_bcnt_u32_b32 v43, v43, v44
	buffer_load_dword v44, off, s[96:99], 0 offset:772 ; 4-byte Folded Reload
	s_waitcnt vmcnt(0)
	ds_add_u32 v44, v43
.LBB17_32:                              ;   in Loop: Header=BB17_2 Depth=1
	s_or_b64 exec, exec, s[6:7]
	v_cndmask_b32_e64 v43, 0, 1, s[0:1]
	v_cmp_ne_u32_e32 vcc, 0, v43
	buffer_load_dword v43, off, s[96:99], 0 offset:436 ; 4-byte Folded Reload
	buffer_load_dword v44, off, s[96:99], 0 offset:368 ; 4-byte Folded Reload
	v_cndmask_b32_e64 v45, 0, 1, s[36:37]
	s_waitcnt vmcnt(1)
	v_xor_b32_e32 v43, vcc_hi, v43
	s_waitcnt vmcnt(0)
	v_xor_b32_e32 v44, vcc_lo, v44
	v_cmp_ne_u32_e32 vcc, 0, v45
	v_and_b32_e32 v43, exec_hi, v43
	v_xor_b32_e32 v45, vcc_hi, v33
	v_and_b32_e32 v43, v43, v45
	v_cndmask_b32_e64 v45, 0, 1, s[38:39]
	v_xor_b32_e32 v46, vcc_lo, v85
	v_cmp_ne_u32_e32 vcc, 0, v45
	v_xor_b32_e32 v45, vcc_hi, v117
	v_and_b32_e32 v44, exec_lo, v44
	v_and_b32_e32 v43, v43, v45
	v_cndmask_b32_e64 v45, 0, 1, s[40:41]
	v_and_b32_e32 v44, v44, v46
	v_xor_b32_e32 v46, vcc_lo, v53
	v_cmp_ne_u32_e32 vcc, 0, v45
	v_xor_b32_e32 v45, vcc_hi, v0
	v_and_b32_e32 v43, v43, v45
	v_cndmask_b32_e64 v45, 0, 1, s[42:43]
	v_and_b32_e32 v44, v44, v46
	v_xor_b32_e32 v46, vcc_lo, v19
	v_cmp_ne_u32_e32 vcc, 0, v45
	v_xor_b32_e32 v45, vcc_hi, v1
	;; [unrolled: 6-line block ×5, first 2 shown]
	v_and_b32_e32 v43, v43, v45
	v_cndmask_b32_e64 v45, 0, 1, s[50:51]
	v_and_b32_e32 v44, v44, v46
	v_xor_b32_e32 v46, vcc_lo, v87
	v_cmp_ne_u32_e32 vcc, 0, v45
	v_and_b32_e32 v44, v44, v46
	v_xor_b32_e32 v46, vcc_lo, v67
	v_xor_b32_e32 v45, vcc_hi, v34
	v_and_b32_e32 v44, v44, v46
	v_and_b32_e32 v43, v43, v45
	v_mbcnt_lo_u32_b32 v45, v44, 0
	v_mbcnt_hi_u32_b32 v45, v43, v45
	v_cmp_eq_u32_e32 vcc, 0, v45
	s_and_saveexec_b64 s[6:7], vcc
	s_cbranch_execz .LBB17_34
; %bb.33:                               ;   in Loop: Header=BB17_2 Depth=1
	v_bcnt_u32_b32 v44, v44, 0
	v_bcnt_u32_b32 v43, v43, v44
	buffer_load_dword v44, off, s[96:99], 0 offset:776 ; 4-byte Folded Reload
	s_waitcnt vmcnt(0)
	ds_add_u32 v44, v43
.LBB17_34:                              ;   in Loop: Header=BB17_2 Depth=1
	s_or_b64 exec, exec, s[6:7]
	v_cndmask_b32_e64 v43, 0, 1, s[2:3]
	v_cmp_ne_u32_e32 vcc, 0, v43
	buffer_load_dword v43, off, s[96:99], 0 offset:440 ; 4-byte Folded Reload
	buffer_load_dword v44, off, s[96:99], 0 offset:372 ; 4-byte Folded Reload
	v_cndmask_b32_e64 v45, 0, 1, s[52:53]
	s_waitcnt vmcnt(1)
	v_xor_b32_e32 v43, vcc_hi, v43
	s_waitcnt vmcnt(0)
	v_xor_b32_e32 v44, vcc_lo, v44
	v_cmp_ne_u32_e32 vcc, 0, v45
	v_and_b32_e32 v43, exec_hi, v43
	v_xor_b32_e32 v45, vcc_hi, v35
	v_and_b32_e32 v43, v43, v45
	v_cndmask_b32_e64 v45, 0, 1, s[54:55]
	v_xor_b32_e32 v46, vcc_lo, v88
	v_cmp_ne_u32_e32 vcc, 0, v45
	v_xor_b32_e32 v45, vcc_hi, v36
	v_and_b32_e32 v44, exec_lo, v44
	v_and_b32_e32 v43, v43, v45
	v_cndmask_b32_e64 v45, 0, 1, s[56:57]
	v_and_b32_e32 v44, v44, v46
	v_xor_b32_e32 v46, vcc_lo, v50
	v_cmp_ne_u32_e32 vcc, 0, v45
	v_xor_b32_e32 v45, vcc_hi, v37
	v_and_b32_e32 v43, v43, v45
	v_cndmask_b32_e64 v45, 0, 1, s[58:59]
	v_and_b32_e32 v44, v44, v46
	v_xor_b32_e32 v46, vcc_lo, v89
	v_cmp_ne_u32_e32 vcc, 0, v45
	v_xor_b32_e32 v45, vcc_hi, v38
	;; [unrolled: 6-line block ×5, first 2 shown]
	v_and_b32_e32 v43, v43, v45
	v_cndmask_b32_e64 v45, 0, 1, s[66:67]
	v_and_b32_e32 v44, v44, v46
	v_xor_b32_e32 v46, vcc_lo, v90
	v_cmp_ne_u32_e32 vcc, 0, v45
	v_and_b32_e32 v44, v44, v46
	v_xor_b32_e32 v46, vcc_lo, v69
	v_xor_b32_e32 v45, vcc_hi, v42
	v_and_b32_e32 v44, v44, v46
	v_and_b32_e32 v43, v43, v45
	v_mbcnt_lo_u32_b32 v45, v44, 0
	v_mbcnt_hi_u32_b32 v45, v43, v45
	v_cmp_eq_u32_e32 vcc, 0, v45
	s_and_saveexec_b64 s[6:7], vcc
	s_cbranch_execz .LBB17_1
; %bb.35:                               ;   in Loop: Header=BB17_2 Depth=1
	v_bcnt_u32_b32 v44, v44, 0
	v_bcnt_u32_b32 v43, v43, v44
	buffer_load_dword v44, off, s[96:99], 0 offset:780 ; 4-byte Folded Reload
	s_waitcnt vmcnt(0)
	ds_add_u32 v44, v43
	s_branch .LBB17_1
.LBB17_36:
	s_and_saveexec_b64 s[0:1], s[4:5]
	s_cbranch_execz .LBB17_38
; %bb.37:
	buffer_load_dword v0, off, s[96:99], 0 offset:784 ; 4-byte Folded Reload
	buffer_load_dword v3, off, s[96:99], 0 offset:716 ; 4-byte Folded Reload
	v_readlane_b32 s0, v124, 0
	v_mov_b32_e32 v1, 0
	s_waitcnt vmcnt(1)
	v_lshl_or_b32 v0, s0, 9, v0
	s_waitcnt vmcnt(0)
	ds_read_b32 v3, v3
	v_lshlrev_b64 v[0:1], 2, v[0:1]
	v_readlane_b32 s0, v124, 1
	v_readlane_b32 s2, v124, 3
	;; [unrolled: 1-line block ×3, first 2 shown]
	v_mov_b32_e32 v2, s3
	v_add_co_u32_e32 v0, vcc, s2, v0
	v_addc_co_u32_e32 v1, vcc, v2, v1, vcc
	v_readlane_b32 s1, v124, 2
	s_waitcnt lgkmcnt(0)
	global_store_dword v[0:1], v3, off
.LBB17_38:
	s_endpgm
	.section	.rodata,"a",@progbits
	.p2align	6, 0x0
	.amdhsa_kernel _Z6kernelI9histogramILN6hipcub23BlockHistogramAlgorithmE0EEiLj512ELj16ELj512ELj100EEvPKT0_PS4_
		.amdhsa_group_segment_fixed_size 2048
		.amdhsa_private_segment_fixed_size 920
		.amdhsa_kernarg_size 16
		.amdhsa_user_sgpr_count 6
		.amdhsa_user_sgpr_private_segment_buffer 1
		.amdhsa_user_sgpr_dispatch_ptr 0
		.amdhsa_user_sgpr_queue_ptr 0
		.amdhsa_user_sgpr_kernarg_segment_ptr 1
		.amdhsa_user_sgpr_dispatch_id 0
		.amdhsa_user_sgpr_flat_scratch_init 0
		.amdhsa_user_sgpr_private_segment_size 0
		.amdhsa_uses_dynamic_stack 0
		.amdhsa_system_sgpr_private_segment_wavefront_offset 1
		.amdhsa_system_sgpr_workgroup_id_x 1
		.amdhsa_system_sgpr_workgroup_id_y 0
		.amdhsa_system_sgpr_workgroup_id_z 0
		.amdhsa_system_sgpr_workgroup_info 0
		.amdhsa_system_vgpr_workitem_id 0
		.amdhsa_next_free_vgpr 128
		.amdhsa_next_free_sgpr 100
		.amdhsa_reserve_vcc 1
		.amdhsa_reserve_flat_scratch 0
		.amdhsa_float_round_mode_32 0
		.amdhsa_float_round_mode_16_64 0
		.amdhsa_float_denorm_mode_32 3
		.amdhsa_float_denorm_mode_16_64 3
		.amdhsa_dx10_clamp 1
		.amdhsa_ieee_mode 1
		.amdhsa_fp16_overflow 0
		.amdhsa_exception_fp_ieee_invalid_op 0
		.amdhsa_exception_fp_denorm_src 0
		.amdhsa_exception_fp_ieee_div_zero 0
		.amdhsa_exception_fp_ieee_overflow 0
		.amdhsa_exception_fp_ieee_underflow 0
		.amdhsa_exception_fp_ieee_inexact 0
		.amdhsa_exception_int_div_zero 0
	.end_amdhsa_kernel
	.section	.text._Z6kernelI9histogramILN6hipcub23BlockHistogramAlgorithmE0EEiLj512ELj16ELj512ELj100EEvPKT0_PS4_,"axG",@progbits,_Z6kernelI9histogramILN6hipcub23BlockHistogramAlgorithmE0EEiLj512ELj16ELj512ELj100EEvPKT0_PS4_,comdat
.Lfunc_end17:
	.size	_Z6kernelI9histogramILN6hipcub23BlockHistogramAlgorithmE0EEiLj512ELj16ELj512ELj100EEvPKT0_PS4_, .Lfunc_end17-_Z6kernelI9histogramILN6hipcub23BlockHistogramAlgorithmE0EEiLj512ELj16ELj512ELj100EEvPKT0_PS4_
                                        ; -- End function
	.set _Z6kernelI9histogramILN6hipcub23BlockHistogramAlgorithmE0EEiLj512ELj16ELj512ELj100EEvPKT0_PS4_.num_vgpr, 128
	.set _Z6kernelI9histogramILN6hipcub23BlockHistogramAlgorithmE0EEiLj512ELj16ELj512ELj100EEvPKT0_PS4_.num_agpr, 0
	.set _Z6kernelI9histogramILN6hipcub23BlockHistogramAlgorithmE0EEiLj512ELj16ELj512ELj100EEvPKT0_PS4_.numbered_sgpr, 100
	.set _Z6kernelI9histogramILN6hipcub23BlockHistogramAlgorithmE0EEiLj512ELj16ELj512ELj100EEvPKT0_PS4_.num_named_barrier, 0
	.set _Z6kernelI9histogramILN6hipcub23BlockHistogramAlgorithmE0EEiLj512ELj16ELj512ELj100EEvPKT0_PS4_.private_seg_size, 920
	.set _Z6kernelI9histogramILN6hipcub23BlockHistogramAlgorithmE0EEiLj512ELj16ELj512ELj100EEvPKT0_PS4_.uses_vcc, 1
	.set _Z6kernelI9histogramILN6hipcub23BlockHistogramAlgorithmE0EEiLj512ELj16ELj512ELj100EEvPKT0_PS4_.uses_flat_scratch, 0
	.set _Z6kernelI9histogramILN6hipcub23BlockHistogramAlgorithmE0EEiLj512ELj16ELj512ELj100EEvPKT0_PS4_.has_dyn_sized_stack, 0
	.set _Z6kernelI9histogramILN6hipcub23BlockHistogramAlgorithmE0EEiLj512ELj16ELj512ELj100EEvPKT0_PS4_.has_recursion, 0
	.set _Z6kernelI9histogramILN6hipcub23BlockHistogramAlgorithmE0EEiLj512ELj16ELj512ELj100EEvPKT0_PS4_.has_indirect_call, 0
	.section	.AMDGPU.csdata,"",@progbits
; Kernel info:
; codeLenInByte = 19688
; TotalNumSgprs: 104
; NumVgprs: 128
; ScratchSize: 920
; MemoryBound: 0
; FloatMode: 240
; IeeeMode: 1
; LDSByteSize: 2048 bytes/workgroup (compile time only)
; SGPRBlocks: 12
; VGPRBlocks: 31
; NumSGPRsForWavesPerEU: 104
; NumVGPRsForWavesPerEU: 128
; Occupancy: 2
; WaveLimiterHint : 0
; COMPUTE_PGM_RSRC2:SCRATCH_EN: 1
; COMPUTE_PGM_RSRC2:USER_SGPR: 6
; COMPUTE_PGM_RSRC2:TRAP_HANDLER: 0
; COMPUTE_PGM_RSRC2:TGID_X_EN: 1
; COMPUTE_PGM_RSRC2:TGID_Y_EN: 0
; COMPUTE_PGM_RSRC2:TGID_Z_EN: 0
; COMPUTE_PGM_RSRC2:TIDIG_COMP_CNT: 0
	.section	.text._Z6kernelI9histogramILN6hipcub23BlockHistogramAlgorithmE0EEyLj256ELj1ELj256ELj100EEvPKT0_PS4_,"axG",@progbits,_Z6kernelI9histogramILN6hipcub23BlockHistogramAlgorithmE0EEyLj256ELj1ELj256ELj100EEvPKT0_PS4_,comdat
	.protected	_Z6kernelI9histogramILN6hipcub23BlockHistogramAlgorithmE0EEyLj256ELj1ELj256ELj100EEvPKT0_PS4_ ; -- Begin function _Z6kernelI9histogramILN6hipcub23BlockHistogramAlgorithmE0EEyLj256ELj1ELj256ELj100EEvPKT0_PS4_
	.globl	_Z6kernelI9histogramILN6hipcub23BlockHistogramAlgorithmE0EEyLj256ELj1ELj256ELj100EEvPKT0_PS4_
	.p2align	8
	.type	_Z6kernelI9histogramILN6hipcub23BlockHistogramAlgorithmE0EEyLj256ELj1ELj256ELj100EEvPKT0_PS4_,@function
_Z6kernelI9histogramILN6hipcub23BlockHistogramAlgorithmE0EEyLj256ELj1ELj256ELj100EEvPKT0_PS4_: ; @_Z6kernelI9histogramILN6hipcub23BlockHistogramAlgorithmE0EEyLj256ELj1ELj256ELj100EEvPKT0_PS4_
; %bb.0:
	s_load_dwordx4 s[20:23], s[4:5], 0x0
	s_lshl_b32 s0, s6, 8
	v_mov_b32_e32 v3, 0
	v_or_b32_e32 v1, s0, v0
	v_mov_b32_e32 v2, v3
	v_lshlrev_b64 v[4:5], 3, v[1:2]
	s_waitcnt lgkmcnt(0)
	v_mov_b32_e32 v2, s21
	v_add_co_u32_e32 v4, vcc, s20, v4
	v_addc_co_u32_e32 v5, vcc, v2, v5, vcc
	global_load_dwordx2 v[16:17], v[4:5], off
	s_movk_i32 s0, 0x100
	v_cmp_gt_u32_e32 vcc, s0, v0
	s_movk_i32 s20, 0x64
	v_lshlrev_b32_e32 v0, 3, v0
	s_waitcnt vmcnt(0)
	v_and_b32_e32 v7, 1, v16
	v_add_co_u32_e64 v5, s[0:1], -1, v7
	v_lshlrev_b32_e32 v4, 30, v16
	v_addc_co_u32_e64 v6, s[0:1], 0, -1, s[0:1]
	v_cmp_eq_u32_e64 s[0:1], 1, v7
	v_cmp_gt_i64_e64 s[2:3], 0, v[3:4]
	v_not_b32_e32 v7, v4
	v_lshlrev_b32_e32 v4, 29, v16
	v_cmp_gt_i64_e64 s[4:5], 0, v[3:4]
	v_not_b32_e32 v9, v4
	v_lshlrev_b32_e32 v4, 28, v16
	;; [unrolled: 3-line block ×6, first 2 shown]
	v_cmp_gt_i64_e64 s[14:15], 0, v[3:4]
	v_not_b32_e32 v4, v4
	v_ashrrev_i32_e32 v7, 31, v7
	v_ashrrev_i32_e32 v9, 31, v9
	;; [unrolled: 1-line block ×7, first 2 shown]
	v_lshlrev_b32_e32 v2, 3, v16
	v_mov_b32_e32 v8, v7
	v_mov_b32_e32 v10, v9
	;; [unrolled: 1-line block ×7, first 2 shown]
	s_branch .LBB18_2
.LBB18_1:                               ;   in Loop: Header=BB18_2 Depth=1
	s_or_b64 exec, exec, s[18:19]
	s_add_i32 s20, s20, -1
	s_cmp_eq_u32 s20, 0
	s_waitcnt lgkmcnt(0)
	s_barrier
	s_cbranch_scc1 .LBB18_6
.LBB18_2:                               ; =>This Inner Loop Header: Depth=1
	s_and_saveexec_b64 s[16:17], vcc
; %bb.3:                                ;   in Loop: Header=BB18_2 Depth=1
	v_mov_b32_e32 v4, v3
	ds_write_b64 v0, v[3:4]
; %bb.4:                                ;   in Loop: Header=BB18_2 Depth=1
	s_or_b64 exec, exec, s[16:17]
	v_cndmask_b32_e64 v4, 0, 1, s[0:1]
	v_cmp_ne_u32_e64 s[16:17], 0, v4
	v_cndmask_b32_e64 v4, 0, 1, s[2:3]
	v_cmp_ne_u32_e64 s[18:19], 0, v4
	v_xor_b32_e32 v4, s17, v6
	v_and_b32_e32 v4, exec_hi, v4
	v_xor_b32_e32 v21, s19, v8
	v_and_b32_e32 v4, v4, v21
	v_xor_b32_e32 v21, s16, v5
	v_and_b32_e32 v21, exec_lo, v21
	v_xor_b32_e32 v22, s18, v7
	v_and_b32_e32 v21, v21, v22
	v_cndmask_b32_e64 v22, 0, 1, s[4:5]
	v_cmp_ne_u32_e64 s[16:17], 0, v22
	v_xor_b32_e32 v22, s17, v10
	v_and_b32_e32 v4, v4, v22
	v_xor_b32_e32 v22, s16, v9
	v_and_b32_e32 v21, v21, v22
	v_cndmask_b32_e64 v22, 0, 1, s[6:7]
	v_cmp_ne_u32_e64 s[16:17], 0, v22
	v_xor_b32_e32 v22, s17, v12
	v_and_b32_e32 v4, v4, v22
	;; [unrolled: 6-line block ×6, first 2 shown]
	v_xor_b32_e32 v22, s16, v18
	v_and_b32_e32 v21, v21, v22
	v_mbcnt_lo_u32_b32 v22, v21, 0
	v_mbcnt_hi_u32_b32 v22, v4, v22
	v_cmp_eq_u32_e64 s[16:17], 0, v22
	s_waitcnt lgkmcnt(0)
	s_barrier
	s_and_saveexec_b64 s[18:19], s[16:17]
	s_cbranch_execz .LBB18_1
; %bb.5:                                ;   in Loop: Header=BB18_2 Depth=1
	v_bcnt_u32_b32 v21, v21, 0
	v_bcnt_u32_b32 v21, v4, v21
	v_mov_b32_e32 v22, v3
	ds_add_u64 v2, v[21:22]
	s_branch .LBB18_1
.LBB18_6:
	s_and_saveexec_b64 s[0:1], vcc
	s_cbranch_execz .LBB18_8
; %bb.7:
	v_mov_b32_e32 v2, 0
	ds_read_b64 v[3:4], v0
	v_lshlrev_b64 v[1:2], 3, v[1:2]
	v_mov_b32_e32 v5, s23
	v_add_co_u32_e32 v0, vcc, s22, v1
	v_addc_co_u32_e32 v1, vcc, v5, v2, vcc
	s_waitcnt lgkmcnt(0)
	global_store_dwordx2 v[0:1], v[3:4], off
.LBB18_8:
	s_endpgm
	.section	.rodata,"a",@progbits
	.p2align	6, 0x0
	.amdhsa_kernel _Z6kernelI9histogramILN6hipcub23BlockHistogramAlgorithmE0EEyLj256ELj1ELj256ELj100EEvPKT0_PS4_
		.amdhsa_group_segment_fixed_size 2048
		.amdhsa_private_segment_fixed_size 0
		.amdhsa_kernarg_size 16
		.amdhsa_user_sgpr_count 6
		.amdhsa_user_sgpr_private_segment_buffer 1
		.amdhsa_user_sgpr_dispatch_ptr 0
		.amdhsa_user_sgpr_queue_ptr 0
		.amdhsa_user_sgpr_kernarg_segment_ptr 1
		.amdhsa_user_sgpr_dispatch_id 0
		.amdhsa_user_sgpr_flat_scratch_init 0
		.amdhsa_user_sgpr_private_segment_size 0
		.amdhsa_uses_dynamic_stack 0
		.amdhsa_system_sgpr_private_segment_wavefront_offset 0
		.amdhsa_system_sgpr_workgroup_id_x 1
		.amdhsa_system_sgpr_workgroup_id_y 0
		.amdhsa_system_sgpr_workgroup_id_z 0
		.amdhsa_system_sgpr_workgroup_info 0
		.amdhsa_system_vgpr_workitem_id 0
		.amdhsa_next_free_vgpr 23
		.amdhsa_next_free_sgpr 24
		.amdhsa_reserve_vcc 1
		.amdhsa_reserve_flat_scratch 0
		.amdhsa_float_round_mode_32 0
		.amdhsa_float_round_mode_16_64 0
		.amdhsa_float_denorm_mode_32 3
		.amdhsa_float_denorm_mode_16_64 3
		.amdhsa_dx10_clamp 1
		.amdhsa_ieee_mode 1
		.amdhsa_fp16_overflow 0
		.amdhsa_exception_fp_ieee_invalid_op 0
		.amdhsa_exception_fp_denorm_src 0
		.amdhsa_exception_fp_ieee_div_zero 0
		.amdhsa_exception_fp_ieee_overflow 0
		.amdhsa_exception_fp_ieee_underflow 0
		.amdhsa_exception_fp_ieee_inexact 0
		.amdhsa_exception_int_div_zero 0
	.end_amdhsa_kernel
	.section	.text._Z6kernelI9histogramILN6hipcub23BlockHistogramAlgorithmE0EEyLj256ELj1ELj256ELj100EEvPKT0_PS4_,"axG",@progbits,_Z6kernelI9histogramILN6hipcub23BlockHistogramAlgorithmE0EEyLj256ELj1ELj256ELj100EEvPKT0_PS4_,comdat
.Lfunc_end18:
	.size	_Z6kernelI9histogramILN6hipcub23BlockHistogramAlgorithmE0EEyLj256ELj1ELj256ELj100EEvPKT0_PS4_, .Lfunc_end18-_Z6kernelI9histogramILN6hipcub23BlockHistogramAlgorithmE0EEyLj256ELj1ELj256ELj100EEvPKT0_PS4_
                                        ; -- End function
	.set _Z6kernelI9histogramILN6hipcub23BlockHistogramAlgorithmE0EEyLj256ELj1ELj256ELj100EEvPKT0_PS4_.num_vgpr, 23
	.set _Z6kernelI9histogramILN6hipcub23BlockHistogramAlgorithmE0EEyLj256ELj1ELj256ELj100EEvPKT0_PS4_.num_agpr, 0
	.set _Z6kernelI9histogramILN6hipcub23BlockHistogramAlgorithmE0EEyLj256ELj1ELj256ELj100EEvPKT0_PS4_.numbered_sgpr, 24
	.set _Z6kernelI9histogramILN6hipcub23BlockHistogramAlgorithmE0EEyLj256ELj1ELj256ELj100EEvPKT0_PS4_.num_named_barrier, 0
	.set _Z6kernelI9histogramILN6hipcub23BlockHistogramAlgorithmE0EEyLj256ELj1ELj256ELj100EEvPKT0_PS4_.private_seg_size, 0
	.set _Z6kernelI9histogramILN6hipcub23BlockHistogramAlgorithmE0EEyLj256ELj1ELj256ELj100EEvPKT0_PS4_.uses_vcc, 1
	.set _Z6kernelI9histogramILN6hipcub23BlockHistogramAlgorithmE0EEyLj256ELj1ELj256ELj100EEvPKT0_PS4_.uses_flat_scratch, 0
	.set _Z6kernelI9histogramILN6hipcub23BlockHistogramAlgorithmE0EEyLj256ELj1ELj256ELj100EEvPKT0_PS4_.has_dyn_sized_stack, 0
	.set _Z6kernelI9histogramILN6hipcub23BlockHistogramAlgorithmE0EEyLj256ELj1ELj256ELj100EEvPKT0_PS4_.has_recursion, 0
	.set _Z6kernelI9histogramILN6hipcub23BlockHistogramAlgorithmE0EEyLj256ELj1ELj256ELj100EEvPKT0_PS4_.has_indirect_call, 0
	.section	.AMDGPU.csdata,"",@progbits
; Kernel info:
; codeLenInByte = 708
; TotalNumSgprs: 28
; NumVgprs: 23
; ScratchSize: 0
; MemoryBound: 0
; FloatMode: 240
; IeeeMode: 1
; LDSByteSize: 2048 bytes/workgroup (compile time only)
; SGPRBlocks: 3
; VGPRBlocks: 5
; NumSGPRsForWavesPerEU: 28
; NumVGPRsForWavesPerEU: 23
; Occupancy: 10
; WaveLimiterHint : 0
; COMPUTE_PGM_RSRC2:SCRATCH_EN: 0
; COMPUTE_PGM_RSRC2:USER_SGPR: 6
; COMPUTE_PGM_RSRC2:TRAP_HANDLER: 0
; COMPUTE_PGM_RSRC2:TGID_X_EN: 1
; COMPUTE_PGM_RSRC2:TGID_Y_EN: 0
; COMPUTE_PGM_RSRC2:TGID_Z_EN: 0
; COMPUTE_PGM_RSRC2:TIDIG_COMP_CNT: 0
	.section	.text._Z6kernelI9histogramILN6hipcub23BlockHistogramAlgorithmE0EEyLj256ELj2ELj256ELj100EEvPKT0_PS4_,"axG",@progbits,_Z6kernelI9histogramILN6hipcub23BlockHistogramAlgorithmE0EEyLj256ELj2ELj256ELj100EEvPKT0_PS4_,comdat
	.protected	_Z6kernelI9histogramILN6hipcub23BlockHistogramAlgorithmE0EEyLj256ELj2ELj256ELj100EEvPKT0_PS4_ ; -- Begin function _Z6kernelI9histogramILN6hipcub23BlockHistogramAlgorithmE0EEyLj256ELj2ELj256ELj100EEvPKT0_PS4_
	.globl	_Z6kernelI9histogramILN6hipcub23BlockHistogramAlgorithmE0EEyLj256ELj2ELj256ELj100EEvPKT0_PS4_
	.p2align	8
	.type	_Z6kernelI9histogramILN6hipcub23BlockHistogramAlgorithmE0EEyLj256ELj2ELj256ELj100EEvPKT0_PS4_,@function
_Z6kernelI9histogramILN6hipcub23BlockHistogramAlgorithmE0EEyLj256ELj2ELj256ELj100EEvPKT0_PS4_: ; @_Z6kernelI9histogramILN6hipcub23BlockHistogramAlgorithmE0EEyLj256ELj2ELj256ELj100EEvPKT0_PS4_
; %bb.0:
	s_load_dwordx4 s[36:39], s[4:5], 0x0
	v_lshlrev_b32_e32 v1, 1, v0
	v_lshl_or_b32 v2, s6, 9, v1
	v_mov_b32_e32 v1, 0
	v_mov_b32_e32 v3, v1
	v_lshlrev_b64 v[2:3], 3, v[2:3]
	s_waitcnt lgkmcnt(0)
	v_mov_b32_e32 v4, s37
	v_add_co_u32_e32 v2, vcc, s36, v2
	v_addc_co_u32_e32 v3, vcc, v4, v3, vcc
	global_load_dwordx4 v[26:29], v[2:3], off
	s_movk_i32 s0, 0x100
	v_cmp_gt_u32_e32 vcc, s0, v0
	s_movk_i32 s7, 0x64
	s_waitcnt vmcnt(0)
	v_and_b32_e32 v5, 1, v26
	v_cmp_eq_u32_e64 s[2:3], 1, v5
	v_add_co_u32_e64 v5, s[8:9], -1, v5
	v_lshlrev_b32_e32 v2, 30, v26
	v_and_b32_e32 v7, 1, v28
	v_addc_co_u32_e64 v6, s[8:9], 0, -1, s[8:9]
	v_cmp_gt_i64_e64 s[0:1], 0, v[1:2]
	v_not_b32_e32 v9, v2
	v_lshlrev_b32_e32 v2, 29, v26
	v_cmp_eq_u32_e64 s[4:5], 1, v7
	v_add_co_u32_e64 v7, s[8:9], -1, v7
	v_addc_co_u32_e64 v8, s[8:9], 0, -1, s[8:9]
	v_cmp_gt_i64_e64 s[34:35], 0, v[1:2]
	v_not_b32_e32 v10, v2
	v_lshlrev_b32_e32 v2, 28, v26
	v_cmp_gt_i64_e64 s[8:9], 0, v[1:2]
	v_not_b32_e32 v12, v2
	v_lshlrev_b32_e32 v2, 27, v26
	;; [unrolled: 3-line block ×8, first 2 shown]
	v_lshlrev_b32_e32 v3, 3, v26
	v_cmp_gt_i64_e64 s[22:23], 0, v[1:2]
	v_not_b32_e32 v26, v2
	v_lshlrev_b32_e32 v2, 27, v28
	v_cmp_gt_i64_e64 s[24:25], 0, v[1:2]
	v_not_b32_e32 v29, v2
	;; [unrolled: 3-line block ×5, first 2 shown]
	v_ashrrev_i32_e32 v9, 31, v9
	v_ashrrev_i32_e32 v10, 31, v10
	;; [unrolled: 1-line block ×14, first 2 shown]
	v_lshlrev_b32_e32 v4, 3, v28
	v_mov_b32_e32 v11, v9
	v_mov_b32_e32 v13, v10
	;; [unrolled: 1-line block ×14, first 2 shown]
	v_lshlrev_b32_e32 v28, 3, v0
	s_branch .LBB19_2
.LBB19_1:                               ;   in Loop: Header=BB19_2 Depth=1
	s_or_b64 exec, exec, s[40:41]
	s_add_i32 s7, s7, -1
	s_cmp_eq_u32 s7, 0
	s_waitcnt lgkmcnt(0)
	s_barrier
	s_cbranch_scc1 .LBB19_8
.LBB19_2:                               ; =>This Inner Loop Header: Depth=1
	s_and_saveexec_b64 s[36:37], vcc
; %bb.3:                                ;   in Loop: Header=BB19_2 Depth=1
	v_mov_b32_e32 v2, v1
	ds_write_b64 v28, v[1:2]
; %bb.4:                                ;   in Loop: Header=BB19_2 Depth=1
	s_or_b64 exec, exec, s[36:37]
	v_cndmask_b32_e64 v2, 0, 1, s[2:3]
	v_cmp_ne_u32_e64 s[36:37], 0, v2
	v_cndmask_b32_e64 v39, 0, 1, s[0:1]
	v_xor_b32_e32 v2, s37, v6
	v_xor_b32_e32 v38, s36, v5
	v_cmp_ne_u32_e64 s[36:37], 0, v39
	v_and_b32_e32 v2, exec_hi, v2
	v_xor_b32_e32 v39, s37, v11
	v_and_b32_e32 v2, v2, v39
	v_cndmask_b32_e64 v39, 0, 1, s[34:35]
	v_xor_b32_e32 v40, s36, v9
	v_cmp_ne_u32_e64 s[36:37], 0, v39
	v_xor_b32_e32 v39, s37, v13
	v_and_b32_e32 v38, exec_lo, v38
	v_and_b32_e32 v2, v2, v39
	v_cndmask_b32_e64 v39, 0, 1, s[8:9]
	v_and_b32_e32 v38, v38, v40
	v_xor_b32_e32 v40, s36, v10
	v_cmp_ne_u32_e64 s[36:37], 0, v39
	v_xor_b32_e32 v39, s37, v15
	v_and_b32_e32 v2, v2, v39
	v_cndmask_b32_e64 v39, 0, 1, s[10:11]
	v_and_b32_e32 v38, v38, v40
	v_xor_b32_e32 v40, s36, v12
	v_cmp_ne_u32_e64 s[36:37], 0, v39
	v_xor_b32_e32 v39, s37, v17
	v_and_b32_e32 v2, v2, v39
	v_cndmask_b32_e64 v39, 0, 1, s[12:13]
	v_and_b32_e32 v38, v38, v40
	v_xor_b32_e32 v40, s36, v14
	v_cmp_ne_u32_e64 s[36:37], 0, v39
	v_xor_b32_e32 v39, s37, v19
	v_and_b32_e32 v2, v2, v39
	v_cndmask_b32_e64 v39, 0, 1, s[14:15]
	v_and_b32_e32 v38, v38, v40
	v_xor_b32_e32 v40, s36, v16
	v_cmp_ne_u32_e64 s[36:37], 0, v39
	v_xor_b32_e32 v39, s37, v21
	v_and_b32_e32 v2, v2, v39
	v_cndmask_b32_e64 v39, 0, 1, s[16:17]
	v_and_b32_e32 v38, v38, v40
	v_xor_b32_e32 v40, s36, v18
	v_cmp_ne_u32_e64 s[36:37], 0, v39
	v_and_b32_e32 v38, v38, v40
	v_xor_b32_e32 v40, s36, v20
	v_xor_b32_e32 v39, s37, v23
	v_and_b32_e32 v38, v38, v40
	v_and_b32_e32 v2, v2, v39
	v_mbcnt_lo_u32_b32 v39, v38, 0
	v_mbcnt_hi_u32_b32 v39, v2, v39
	v_cmp_eq_u32_e64 s[36:37], 0, v39
	s_waitcnt lgkmcnt(0)
	s_barrier
	s_and_saveexec_b64 s[40:41], s[36:37]
; %bb.5:                                ;   in Loop: Header=BB19_2 Depth=1
	v_bcnt_u32_b32 v38, v38, 0
	v_bcnt_u32_b32 v38, v2, v38
	v_mov_b32_e32 v39, v1
	ds_add_u64 v3, v[38:39]
; %bb.6:                                ;   in Loop: Header=BB19_2 Depth=1
	s_or_b64 exec, exec, s[40:41]
	v_cndmask_b32_e64 v2, 0, 1, s[4:5]
	v_cmp_ne_u32_e64 s[36:37], 0, v2
	v_cndmask_b32_e64 v39, 0, 1, s[18:19]
	v_xor_b32_e32 v2, s37, v8
	v_xor_b32_e32 v38, s36, v7
	v_cmp_ne_u32_e64 s[36:37], 0, v39
	v_and_b32_e32 v2, exec_hi, v2
	v_xor_b32_e32 v39, s37, v25
	v_and_b32_e32 v2, v2, v39
	v_cndmask_b32_e64 v39, 0, 1, s[20:21]
	v_xor_b32_e32 v40, s36, v22
	v_cmp_ne_u32_e64 s[36:37], 0, v39
	v_xor_b32_e32 v39, s37, v27
	v_and_b32_e32 v38, exec_lo, v38
	v_and_b32_e32 v2, v2, v39
	v_cndmask_b32_e64 v39, 0, 1, s[22:23]
	v_and_b32_e32 v38, v38, v40
	v_xor_b32_e32 v40, s36, v24
	v_cmp_ne_u32_e64 s[36:37], 0, v39
	v_xor_b32_e32 v39, s37, v30
	v_and_b32_e32 v2, v2, v39
	v_cndmask_b32_e64 v39, 0, 1, s[24:25]
	v_and_b32_e32 v38, v38, v40
	v_xor_b32_e32 v40, s36, v26
	v_cmp_ne_u32_e64 s[36:37], 0, v39
	v_xor_b32_e32 v39, s37, v32
	;; [unrolled: 6-line block ×4, first 2 shown]
	v_and_b32_e32 v2, v2, v39
	v_cndmask_b32_e64 v39, 0, 1, s[30:31]
	v_and_b32_e32 v38, v38, v40
	v_xor_b32_e32 v40, s36, v33
	v_cmp_ne_u32_e64 s[36:37], 0, v39
	v_and_b32_e32 v38, v38, v40
	v_xor_b32_e32 v40, s36, v35
	v_xor_b32_e32 v39, s37, v37
	v_and_b32_e32 v38, v38, v40
	v_and_b32_e32 v2, v2, v39
	v_mbcnt_lo_u32_b32 v39, v38, 0
	v_mbcnt_hi_u32_b32 v39, v2, v39
	v_cmp_eq_u32_e64 s[36:37], 0, v39
	s_and_saveexec_b64 s[40:41], s[36:37]
	s_cbranch_execz .LBB19_1
; %bb.7:                                ;   in Loop: Header=BB19_2 Depth=1
	v_bcnt_u32_b32 v38, v38, 0
	v_bcnt_u32_b32 v38, v2, v38
	v_mov_b32_e32 v39, v1
	ds_add_u64 v4, v[38:39]
	s_branch .LBB19_1
.LBB19_8:
	s_and_saveexec_b64 s[0:1], vcc
	s_cbranch_execz .LBB19_10
; %bb.9:
	v_lshl_or_b32 v0, s6, 8, v0
	v_mov_b32_e32 v1, 0
	ds_read_b64 v[2:3], v28
	v_lshlrev_b64 v[0:1], 3, v[0:1]
	v_mov_b32_e32 v4, s39
	v_add_co_u32_e32 v0, vcc, s38, v0
	v_addc_co_u32_e32 v1, vcc, v4, v1, vcc
	s_waitcnt lgkmcnt(0)
	global_store_dwordx2 v[0:1], v[2:3], off
.LBB19_10:
	s_endpgm
	.section	.rodata,"a",@progbits
	.p2align	6, 0x0
	.amdhsa_kernel _Z6kernelI9histogramILN6hipcub23BlockHistogramAlgorithmE0EEyLj256ELj2ELj256ELj100EEvPKT0_PS4_
		.amdhsa_group_segment_fixed_size 2048
		.amdhsa_private_segment_fixed_size 0
		.amdhsa_kernarg_size 16
		.amdhsa_user_sgpr_count 6
		.amdhsa_user_sgpr_private_segment_buffer 1
		.amdhsa_user_sgpr_dispatch_ptr 0
		.amdhsa_user_sgpr_queue_ptr 0
		.amdhsa_user_sgpr_kernarg_segment_ptr 1
		.amdhsa_user_sgpr_dispatch_id 0
		.amdhsa_user_sgpr_flat_scratch_init 0
		.amdhsa_user_sgpr_private_segment_size 0
		.amdhsa_uses_dynamic_stack 0
		.amdhsa_system_sgpr_private_segment_wavefront_offset 0
		.amdhsa_system_sgpr_workgroup_id_x 1
		.amdhsa_system_sgpr_workgroup_id_y 0
		.amdhsa_system_sgpr_workgroup_id_z 0
		.amdhsa_system_sgpr_workgroup_info 0
		.amdhsa_system_vgpr_workitem_id 0
		.amdhsa_next_free_vgpr 41
		.amdhsa_next_free_sgpr 42
		.amdhsa_reserve_vcc 1
		.amdhsa_reserve_flat_scratch 0
		.amdhsa_float_round_mode_32 0
		.amdhsa_float_round_mode_16_64 0
		.amdhsa_float_denorm_mode_32 3
		.amdhsa_float_denorm_mode_16_64 3
		.amdhsa_dx10_clamp 1
		.amdhsa_ieee_mode 1
		.amdhsa_fp16_overflow 0
		.amdhsa_exception_fp_ieee_invalid_op 0
		.amdhsa_exception_fp_denorm_src 0
		.amdhsa_exception_fp_ieee_div_zero 0
		.amdhsa_exception_fp_ieee_overflow 0
		.amdhsa_exception_fp_ieee_underflow 0
		.amdhsa_exception_fp_ieee_inexact 0
		.amdhsa_exception_int_div_zero 0
	.end_amdhsa_kernel
	.section	.text._Z6kernelI9histogramILN6hipcub23BlockHistogramAlgorithmE0EEyLj256ELj2ELj256ELj100EEvPKT0_PS4_,"axG",@progbits,_Z6kernelI9histogramILN6hipcub23BlockHistogramAlgorithmE0EEyLj256ELj2ELj256ELj100EEvPKT0_PS4_,comdat
.Lfunc_end19:
	.size	_Z6kernelI9histogramILN6hipcub23BlockHistogramAlgorithmE0EEyLj256ELj2ELj256ELj100EEvPKT0_PS4_, .Lfunc_end19-_Z6kernelI9histogramILN6hipcub23BlockHistogramAlgorithmE0EEyLj256ELj2ELj256ELj100EEvPKT0_PS4_
                                        ; -- End function
	.set _Z6kernelI9histogramILN6hipcub23BlockHistogramAlgorithmE0EEyLj256ELj2ELj256ELj100EEvPKT0_PS4_.num_vgpr, 41
	.set _Z6kernelI9histogramILN6hipcub23BlockHistogramAlgorithmE0EEyLj256ELj2ELj256ELj100EEvPKT0_PS4_.num_agpr, 0
	.set _Z6kernelI9histogramILN6hipcub23BlockHistogramAlgorithmE0EEyLj256ELj2ELj256ELj100EEvPKT0_PS4_.numbered_sgpr, 42
	.set _Z6kernelI9histogramILN6hipcub23BlockHistogramAlgorithmE0EEyLj256ELj2ELj256ELj100EEvPKT0_PS4_.num_named_barrier, 0
	.set _Z6kernelI9histogramILN6hipcub23BlockHistogramAlgorithmE0EEyLj256ELj2ELj256ELj100EEvPKT0_PS4_.private_seg_size, 0
	.set _Z6kernelI9histogramILN6hipcub23BlockHistogramAlgorithmE0EEyLj256ELj2ELj256ELj100EEvPKT0_PS4_.uses_vcc, 1
	.set _Z6kernelI9histogramILN6hipcub23BlockHistogramAlgorithmE0EEyLj256ELj2ELj256ELj100EEvPKT0_PS4_.uses_flat_scratch, 0
	.set _Z6kernelI9histogramILN6hipcub23BlockHistogramAlgorithmE0EEyLj256ELj2ELj256ELj100EEvPKT0_PS4_.has_dyn_sized_stack, 0
	.set _Z6kernelI9histogramILN6hipcub23BlockHistogramAlgorithmE0EEyLj256ELj2ELj256ELj100EEvPKT0_PS4_.has_recursion, 0
	.set _Z6kernelI9histogramILN6hipcub23BlockHistogramAlgorithmE0EEyLj256ELj2ELj256ELj100EEvPKT0_PS4_.has_indirect_call, 0
	.section	.AMDGPU.csdata,"",@progbits
; Kernel info:
; codeLenInByte = 1236
; TotalNumSgprs: 46
; NumVgprs: 41
; ScratchSize: 0
; MemoryBound: 0
; FloatMode: 240
; IeeeMode: 1
; LDSByteSize: 2048 bytes/workgroup (compile time only)
; SGPRBlocks: 5
; VGPRBlocks: 10
; NumSGPRsForWavesPerEU: 46
; NumVGPRsForWavesPerEU: 41
; Occupancy: 5
; WaveLimiterHint : 0
; COMPUTE_PGM_RSRC2:SCRATCH_EN: 0
; COMPUTE_PGM_RSRC2:USER_SGPR: 6
; COMPUTE_PGM_RSRC2:TRAP_HANDLER: 0
; COMPUTE_PGM_RSRC2:TGID_X_EN: 1
; COMPUTE_PGM_RSRC2:TGID_Y_EN: 0
; COMPUTE_PGM_RSRC2:TGID_Z_EN: 0
; COMPUTE_PGM_RSRC2:TIDIG_COMP_CNT: 0
	.section	.text._Z6kernelI9histogramILN6hipcub23BlockHistogramAlgorithmE0EEyLj256ELj3ELj256ELj100EEvPKT0_PS4_,"axG",@progbits,_Z6kernelI9histogramILN6hipcub23BlockHistogramAlgorithmE0EEyLj256ELj3ELj256ELj100EEvPKT0_PS4_,comdat
	.protected	_Z6kernelI9histogramILN6hipcub23BlockHistogramAlgorithmE0EEyLj256ELj3ELj256ELj100EEvPKT0_PS4_ ; -- Begin function _Z6kernelI9histogramILN6hipcub23BlockHistogramAlgorithmE0EEyLj256ELj3ELj256ELj100EEvPKT0_PS4_
	.globl	_Z6kernelI9histogramILN6hipcub23BlockHistogramAlgorithmE0EEyLj256ELj3ELj256ELj100EEvPKT0_PS4_
	.p2align	8
	.type	_Z6kernelI9histogramILN6hipcub23BlockHistogramAlgorithmE0EEyLj256ELj3ELj256ELj100EEvPKT0_PS4_,@function
_Z6kernelI9histogramILN6hipcub23BlockHistogramAlgorithmE0EEyLj256ELj3ELj256ELj100EEvPKT0_PS4_: ; @_Z6kernelI9histogramILN6hipcub23BlockHistogramAlgorithmE0EEyLj256ELj3ELj256ELj100EEvPKT0_PS4_
; %bb.0:
	s_load_dwordx4 s[52:55], s[4:5], 0x0
	s_lshl_b32 s0, s6, 8
	v_or_b32_e32 v1, s0, v0
	v_mov_b32_e32 v2, 0
	v_lshl_add_u32 v3, v1, 1, v1
	v_mov_b32_e32 v4, v2
	v_lshlrev_b64 v[4:5], 3, v[3:4]
	s_waitcnt lgkmcnt(0)
	v_mov_b32_e32 v6, s53
	v_add_co_u32_e32 v4, vcc, s52, v4
	v_addc_co_u32_e32 v5, vcc, v6, v5, vcc
	global_load_dwordx2 v[11:12], v[4:5], off
	v_mov_b32_e32 v7, v2
	v_add_u32_e32 v6, 1, v3
	v_lshlrev_b64 v[6:7], 3, v[6:7]
	v_mov_b32_e32 v8, s53
	v_add_co_u32_e32 v6, vcc, s52, v6
	v_addc_co_u32_e32 v7, vcc, v8, v7, vcc
	global_load_dwordx2 v[12:13], v[6:7], off
                                        ; kill: killed $vgpr4 killed $vgpr5
	v_mov_b32_e32 v4, v2
	v_add_u32_e32 v3, 2, v3
	v_lshlrev_b64 v[3:4], 3, v[3:4]
	v_mov_b32_e32 v5, s53
	v_add_co_u32_e32 v3, vcc, s52, v3
	v_addc_co_u32_e32 v4, vcc, v5, v4, vcc
	global_load_dwordx2 v[13:14], v[3:4], off
	s_movk_i32 s0, 0x100
                                        ; kill: killed $vgpr6 killed $vgpr7
	v_cmp_gt_u32_e32 vcc, s0, v0
	v_lshlrev_b32_e32 v0, 3, v0
	s_movk_i32 s33, 0x64
	s_waitcnt vmcnt(2)
	v_lshlrev_b32_e32 v3, 30, v11
	v_cmp_gt_i64_e64 s[0:1], 0, v[2:3]
	v_not_b32_e32 v7, v3
	v_lshlrev_b32_e32 v3, 29, v11
	v_cmp_gt_i64_e64 s[4:5], 0, v[2:3]
	v_not_b32_e32 v8, v3
	;; [unrolled: 3-line block ×4, first 2 shown]
	v_lshlrev_b32_e32 v3, 26, v11
	v_cmp_gt_i64_e64 s[10:11], 0, v[2:3]
	s_waitcnt vmcnt(0)
	v_not_b32_e32 v14, v3
	v_lshlrev_b32_e32 v3, 25, v11
	v_cmp_gt_i64_e64 s[12:13], 0, v[2:3]
	v_not_b32_e32 v15, v3
	v_lshlrev_b32_e32 v3, 24, v11
	v_and_b32_e32 v28, 1, v11
	v_lshlrev_b32_e32 v4, 3, v11
	v_ashrrev_i32_e32 v11, 31, v14
	v_cmp_gt_i64_e64 s[14:15], 0, v[2:3]
	v_not_b32_e32 v14, v3
	v_lshlrev_b32_e32 v3, 30, v12
	v_cmp_gt_i64_e64 s[16:17], 0, v[2:3]
	v_not_b32_e32 v16, v3
	v_lshlrev_b32_e32 v3, 29, v12
	;; [unrolled: 3-line block ×13, first 2 shown]
	v_cmp_eq_u32_e64 s[2:3], 1, v28
	v_not_b32_e32 v29, v3
	v_add_co_u32_e64 v28, s[50:51], -1, v28
	v_and_b32_e32 v37, 1, v12
	v_and_b32_e32 v46, 1, v13
	v_lshlrev_b32_e32 v6, 3, v13
	v_cmp_gt_i64_e64 s[42:43], 0, v[2:3]
	v_lshlrev_b32_e32 v3, 24, v13
	v_ashrrev_i32_e32 v13, 31, v14
	v_ashrrev_i32_e32 v14, 31, v16
	;; [unrolled: 1-line block ×8, first 2 shown]
	v_addc_co_u32_e64 v29, s[50:51], 0, -1, s[50:51]
	v_cmp_eq_u32_e64 s[44:45], 1, v37
	v_add_co_u32_e64 v37, s[50:51], -1, v37
	v_cmp_gt_i64_e64 s[48:49], 0, v[2:3]
	v_not_b32_e32 v3, v3
	v_addc_co_u32_e64 v38, s[50:51], 0, -1, s[50:51]
	v_lshlrev_b32_e32 v5, 3, v12
	v_ashrrev_i32_e32 v7, 31, v7
	v_ashrrev_i32_e32 v8, 31, v8
	;; [unrolled: 1-line block ×8, first 2 shown]
	v_cmp_eq_u32_e64 s[46:47], 1, v46
	v_ashrrev_i32_e32 v21, 31, v23
	v_ashrrev_i32_e32 v23, 31, v25
	;; [unrolled: 1-line block ×4, first 2 shown]
	v_add_co_u32_e64 v46, s[50:51], -1, v46
	v_mov_b32_e32 v30, v7
	v_mov_b32_e32 v31, v8
	v_mov_b32_e32 v32, v9
	v_mov_b32_e32 v33, v10
	v_mov_b32_e32 v34, v11
	v_mov_b32_e32 v35, v12
	v_mov_b32_e32 v36, v13
	v_mov_b32_e32 v39, v14
	v_mov_b32_e32 v40, v15
	v_mov_b32_e32 v41, v16
	v_mov_b32_e32 v42, v17
	v_mov_b32_e32 v43, v18
	v_mov_b32_e32 v44, v19
	v_mov_b32_e32 v45, v20
	v_addc_co_u32_e64 v47, s[50:51], 0, -1, s[50:51]
	v_mov_b32_e32 v48, v21
	v_mov_b32_e32 v49, v22
	;; [unrolled: 1-line block ×7, first 2 shown]
	s_branch .LBB20_2
.LBB20_1:                               ;   in Loop: Header=BB20_2 Depth=1
	s_or_b64 exec, exec, s[52:53]
	s_add_i32 s33, s33, -1
	s_cmp_eq_u32 s33, 0
	s_waitcnt lgkmcnt(0)
	s_barrier
	s_cbranch_scc1 .LBB20_10
.LBB20_2:                               ; =>This Inner Loop Header: Depth=1
	s_and_saveexec_b64 s[50:51], vcc
; %bb.3:                                ;   in Loop: Header=BB20_2 Depth=1
	v_mov_b32_e32 v3, v2
	ds_write_b64 v0, v[2:3]
; %bb.4:                                ;   in Loop: Header=BB20_2 Depth=1
	s_or_b64 exec, exec, s[50:51]
	v_cndmask_b32_e64 v3, 0, 1, s[2:3]
	v_cmp_ne_u32_e64 s[50:51], 0, v3
	v_cndmask_b32_e64 v56, 0, 1, s[0:1]
	v_xor_b32_e32 v3, s51, v29
	v_xor_b32_e32 v55, s50, v28
	v_cmp_ne_u32_e64 s[50:51], 0, v56
	v_and_b32_e32 v3, exec_hi, v3
	v_xor_b32_e32 v56, s51, v30
	v_and_b32_e32 v3, v3, v56
	v_cndmask_b32_e64 v56, 0, 1, s[4:5]
	v_xor_b32_e32 v57, s50, v7
	v_cmp_ne_u32_e64 s[50:51], 0, v56
	v_xor_b32_e32 v56, s51, v31
	v_and_b32_e32 v55, exec_lo, v55
	v_and_b32_e32 v3, v3, v56
	v_cndmask_b32_e64 v56, 0, 1, s[6:7]
	v_and_b32_e32 v55, v55, v57
	v_xor_b32_e32 v57, s50, v8
	v_cmp_ne_u32_e64 s[50:51], 0, v56
	v_xor_b32_e32 v56, s51, v32
	v_and_b32_e32 v3, v3, v56
	v_cndmask_b32_e64 v56, 0, 1, s[8:9]
	v_and_b32_e32 v55, v55, v57
	v_xor_b32_e32 v57, s50, v9
	v_cmp_ne_u32_e64 s[50:51], 0, v56
	v_xor_b32_e32 v56, s51, v33
	;; [unrolled: 6-line block ×4, first 2 shown]
	v_and_b32_e32 v3, v3, v56
	v_cndmask_b32_e64 v56, 0, 1, s[14:15]
	v_and_b32_e32 v55, v55, v57
	v_xor_b32_e32 v57, s50, v12
	v_cmp_ne_u32_e64 s[50:51], 0, v56
	v_and_b32_e32 v55, v55, v57
	v_xor_b32_e32 v57, s50, v13
	v_xor_b32_e32 v56, s51, v36
	v_and_b32_e32 v55, v55, v57
	v_and_b32_e32 v3, v3, v56
	v_mbcnt_lo_u32_b32 v56, v55, 0
	v_mbcnt_hi_u32_b32 v56, v3, v56
	v_cmp_eq_u32_e64 s[50:51], 0, v56
	s_waitcnt lgkmcnt(0)
	s_barrier
	s_and_saveexec_b64 s[52:53], s[50:51]
; %bb.5:                                ;   in Loop: Header=BB20_2 Depth=1
	v_bcnt_u32_b32 v55, v55, 0
	v_bcnt_u32_b32 v55, v3, v55
	v_mov_b32_e32 v56, v2
	ds_add_u64 v4, v[55:56]
; %bb.6:                                ;   in Loop: Header=BB20_2 Depth=1
	s_or_b64 exec, exec, s[52:53]
	v_cndmask_b32_e64 v3, 0, 1, s[44:45]
	v_cmp_ne_u32_e64 s[50:51], 0, v3
	v_cndmask_b32_e64 v56, 0, 1, s[16:17]
	v_xor_b32_e32 v3, s51, v38
	v_xor_b32_e32 v55, s50, v37
	v_cmp_ne_u32_e64 s[50:51], 0, v56
	v_and_b32_e32 v3, exec_hi, v3
	v_xor_b32_e32 v56, s51, v39
	v_and_b32_e32 v3, v3, v56
	v_cndmask_b32_e64 v56, 0, 1, s[18:19]
	v_xor_b32_e32 v57, s50, v14
	v_cmp_ne_u32_e64 s[50:51], 0, v56
	v_xor_b32_e32 v56, s51, v40
	v_and_b32_e32 v55, exec_lo, v55
	v_and_b32_e32 v3, v3, v56
	v_cndmask_b32_e64 v56, 0, 1, s[20:21]
	v_and_b32_e32 v55, v55, v57
	v_xor_b32_e32 v57, s50, v15
	v_cmp_ne_u32_e64 s[50:51], 0, v56
	v_xor_b32_e32 v56, s51, v41
	v_and_b32_e32 v3, v3, v56
	v_cndmask_b32_e64 v56, 0, 1, s[22:23]
	v_and_b32_e32 v55, v55, v57
	v_xor_b32_e32 v57, s50, v16
	v_cmp_ne_u32_e64 s[50:51], 0, v56
	v_xor_b32_e32 v56, s51, v42
	;; [unrolled: 6-line block ×4, first 2 shown]
	v_and_b32_e32 v3, v3, v56
	v_cndmask_b32_e64 v56, 0, 1, s[28:29]
	v_and_b32_e32 v55, v55, v57
	v_xor_b32_e32 v57, s50, v19
	v_cmp_ne_u32_e64 s[50:51], 0, v56
	v_and_b32_e32 v55, v55, v57
	v_xor_b32_e32 v57, s50, v20
	v_xor_b32_e32 v56, s51, v45
	v_and_b32_e32 v55, v55, v57
	v_and_b32_e32 v3, v3, v56
	v_mbcnt_lo_u32_b32 v56, v55, 0
	v_mbcnt_hi_u32_b32 v56, v3, v56
	v_cmp_eq_u32_e64 s[50:51], 0, v56
	s_and_saveexec_b64 s[52:53], s[50:51]
; %bb.7:                                ;   in Loop: Header=BB20_2 Depth=1
	v_bcnt_u32_b32 v55, v55, 0
	v_bcnt_u32_b32 v55, v3, v55
	v_mov_b32_e32 v56, v2
	ds_add_u64 v5, v[55:56]
; %bb.8:                                ;   in Loop: Header=BB20_2 Depth=1
	s_or_b64 exec, exec, s[52:53]
	v_cndmask_b32_e64 v3, 0, 1, s[46:47]
	v_cmp_ne_u32_e64 s[50:51], 0, v3
	v_cndmask_b32_e64 v56, 0, 1, s[30:31]
	v_xor_b32_e32 v3, s51, v47
	v_xor_b32_e32 v55, s50, v46
	v_cmp_ne_u32_e64 s[50:51], 0, v56
	v_and_b32_e32 v3, exec_hi, v3
	v_xor_b32_e32 v56, s51, v48
	v_and_b32_e32 v3, v3, v56
	v_cndmask_b32_e64 v56, 0, 1, s[34:35]
	v_xor_b32_e32 v57, s50, v21
	v_cmp_ne_u32_e64 s[50:51], 0, v56
	v_xor_b32_e32 v56, s51, v49
	v_and_b32_e32 v55, exec_lo, v55
	v_and_b32_e32 v3, v3, v56
	v_cndmask_b32_e64 v56, 0, 1, s[36:37]
	v_and_b32_e32 v55, v55, v57
	v_xor_b32_e32 v57, s50, v22
	v_cmp_ne_u32_e64 s[50:51], 0, v56
	v_xor_b32_e32 v56, s51, v50
	v_and_b32_e32 v3, v3, v56
	v_cndmask_b32_e64 v56, 0, 1, s[38:39]
	v_and_b32_e32 v55, v55, v57
	v_xor_b32_e32 v57, s50, v23
	v_cmp_ne_u32_e64 s[50:51], 0, v56
	v_xor_b32_e32 v56, s51, v51
	;; [unrolled: 6-line block ×4, first 2 shown]
	v_and_b32_e32 v3, v3, v56
	v_cndmask_b32_e64 v56, 0, 1, s[48:49]
	v_and_b32_e32 v55, v55, v57
	v_xor_b32_e32 v57, s50, v26
	v_cmp_ne_u32_e64 s[50:51], 0, v56
	v_and_b32_e32 v55, v55, v57
	v_xor_b32_e32 v57, s50, v27
	v_xor_b32_e32 v56, s51, v54
	v_and_b32_e32 v55, v55, v57
	v_and_b32_e32 v3, v3, v56
	v_mbcnt_lo_u32_b32 v56, v55, 0
	v_mbcnt_hi_u32_b32 v56, v3, v56
	v_cmp_eq_u32_e64 s[50:51], 0, v56
	s_and_saveexec_b64 s[52:53], s[50:51]
	s_cbranch_execz .LBB20_1
; %bb.9:                                ;   in Loop: Header=BB20_2 Depth=1
	v_bcnt_u32_b32 v55, v55, 0
	v_bcnt_u32_b32 v55, v3, v55
	v_mov_b32_e32 v56, v2
	ds_add_u64 v6, v[55:56]
	s_branch .LBB20_1
.LBB20_10:
	s_and_saveexec_b64 s[0:1], vcc
	s_cbranch_execz .LBB20_12
; %bb.11:
	v_mov_b32_e32 v2, 0
	ds_read_b64 v[3:4], v0
	v_lshlrev_b64 v[1:2], 3, v[1:2]
	v_mov_b32_e32 v5, s55
	v_add_co_u32_e32 v0, vcc, s54, v1
	v_addc_co_u32_e32 v1, vcc, v5, v2, vcc
	s_waitcnt lgkmcnt(0)
	global_store_dwordx2 v[0:1], v[3:4], off
.LBB20_12:
	s_endpgm
	.section	.rodata,"a",@progbits
	.p2align	6, 0x0
	.amdhsa_kernel _Z6kernelI9histogramILN6hipcub23BlockHistogramAlgorithmE0EEyLj256ELj3ELj256ELj100EEvPKT0_PS4_
		.amdhsa_group_segment_fixed_size 2048
		.amdhsa_private_segment_fixed_size 0
		.amdhsa_kernarg_size 16
		.amdhsa_user_sgpr_count 6
		.amdhsa_user_sgpr_private_segment_buffer 1
		.amdhsa_user_sgpr_dispatch_ptr 0
		.amdhsa_user_sgpr_queue_ptr 0
		.amdhsa_user_sgpr_kernarg_segment_ptr 1
		.amdhsa_user_sgpr_dispatch_id 0
		.amdhsa_user_sgpr_flat_scratch_init 0
		.amdhsa_user_sgpr_private_segment_size 0
		.amdhsa_uses_dynamic_stack 0
		.amdhsa_system_sgpr_private_segment_wavefront_offset 0
		.amdhsa_system_sgpr_workgroup_id_x 1
		.amdhsa_system_sgpr_workgroup_id_y 0
		.amdhsa_system_sgpr_workgroup_id_z 0
		.amdhsa_system_sgpr_workgroup_info 0
		.amdhsa_system_vgpr_workitem_id 0
		.amdhsa_next_free_vgpr 58
		.amdhsa_next_free_sgpr 56
		.amdhsa_reserve_vcc 1
		.amdhsa_reserve_flat_scratch 0
		.amdhsa_float_round_mode_32 0
		.amdhsa_float_round_mode_16_64 0
		.amdhsa_float_denorm_mode_32 3
		.amdhsa_float_denorm_mode_16_64 3
		.amdhsa_dx10_clamp 1
		.amdhsa_ieee_mode 1
		.amdhsa_fp16_overflow 0
		.amdhsa_exception_fp_ieee_invalid_op 0
		.amdhsa_exception_fp_denorm_src 0
		.amdhsa_exception_fp_ieee_div_zero 0
		.amdhsa_exception_fp_ieee_overflow 0
		.amdhsa_exception_fp_ieee_underflow 0
		.amdhsa_exception_fp_ieee_inexact 0
		.amdhsa_exception_int_div_zero 0
	.end_amdhsa_kernel
	.section	.text._Z6kernelI9histogramILN6hipcub23BlockHistogramAlgorithmE0EEyLj256ELj3ELj256ELj100EEvPKT0_PS4_,"axG",@progbits,_Z6kernelI9histogramILN6hipcub23BlockHistogramAlgorithmE0EEyLj256ELj3ELj256ELj100EEvPKT0_PS4_,comdat
.Lfunc_end20:
	.size	_Z6kernelI9histogramILN6hipcub23BlockHistogramAlgorithmE0EEyLj256ELj3ELj256ELj100EEvPKT0_PS4_, .Lfunc_end20-_Z6kernelI9histogramILN6hipcub23BlockHistogramAlgorithmE0EEyLj256ELj3ELj256ELj100EEvPKT0_PS4_
                                        ; -- End function
	.set _Z6kernelI9histogramILN6hipcub23BlockHistogramAlgorithmE0EEyLj256ELj3ELj256ELj100EEvPKT0_PS4_.num_vgpr, 58
	.set _Z6kernelI9histogramILN6hipcub23BlockHistogramAlgorithmE0EEyLj256ELj3ELj256ELj100EEvPKT0_PS4_.num_agpr, 0
	.set _Z6kernelI9histogramILN6hipcub23BlockHistogramAlgorithmE0EEyLj256ELj3ELj256ELj100EEvPKT0_PS4_.numbered_sgpr, 56
	.set _Z6kernelI9histogramILN6hipcub23BlockHistogramAlgorithmE0EEyLj256ELj3ELj256ELj100EEvPKT0_PS4_.num_named_barrier, 0
	.set _Z6kernelI9histogramILN6hipcub23BlockHistogramAlgorithmE0EEyLj256ELj3ELj256ELj100EEvPKT0_PS4_.private_seg_size, 0
	.set _Z6kernelI9histogramILN6hipcub23BlockHistogramAlgorithmE0EEyLj256ELj3ELj256ELj100EEvPKT0_PS4_.uses_vcc, 1
	.set _Z6kernelI9histogramILN6hipcub23BlockHistogramAlgorithmE0EEyLj256ELj3ELj256ELj100EEvPKT0_PS4_.uses_flat_scratch, 0
	.set _Z6kernelI9histogramILN6hipcub23BlockHistogramAlgorithmE0EEyLj256ELj3ELj256ELj100EEvPKT0_PS4_.has_dyn_sized_stack, 0
	.set _Z6kernelI9histogramILN6hipcub23BlockHistogramAlgorithmE0EEyLj256ELj3ELj256ELj100EEvPKT0_PS4_.has_recursion, 0
	.set _Z6kernelI9histogramILN6hipcub23BlockHistogramAlgorithmE0EEyLj256ELj3ELj256ELj100EEvPKT0_PS4_.has_indirect_call, 0
	.section	.AMDGPU.csdata,"",@progbits
; Kernel info:
; codeLenInByte = 1824
; TotalNumSgprs: 60
; NumVgprs: 58
; ScratchSize: 0
; MemoryBound: 0
; FloatMode: 240
; IeeeMode: 1
; LDSByteSize: 2048 bytes/workgroup (compile time only)
; SGPRBlocks: 7
; VGPRBlocks: 14
; NumSGPRsForWavesPerEU: 60
; NumVGPRsForWavesPerEU: 58
; Occupancy: 4
; WaveLimiterHint : 0
; COMPUTE_PGM_RSRC2:SCRATCH_EN: 0
; COMPUTE_PGM_RSRC2:USER_SGPR: 6
; COMPUTE_PGM_RSRC2:TRAP_HANDLER: 0
; COMPUTE_PGM_RSRC2:TGID_X_EN: 1
; COMPUTE_PGM_RSRC2:TGID_Y_EN: 0
; COMPUTE_PGM_RSRC2:TGID_Z_EN: 0
; COMPUTE_PGM_RSRC2:TIDIG_COMP_CNT: 0
	.section	.text._Z6kernelI9histogramILN6hipcub23BlockHistogramAlgorithmE0EEyLj256ELj4ELj256ELj100EEvPKT0_PS4_,"axG",@progbits,_Z6kernelI9histogramILN6hipcub23BlockHistogramAlgorithmE0EEyLj256ELj4ELj256ELj100EEvPKT0_PS4_,comdat
	.protected	_Z6kernelI9histogramILN6hipcub23BlockHistogramAlgorithmE0EEyLj256ELj4ELj256ELj100EEvPKT0_PS4_ ; -- Begin function _Z6kernelI9histogramILN6hipcub23BlockHistogramAlgorithmE0EEyLj256ELj4ELj256ELj100EEvPKT0_PS4_
	.globl	_Z6kernelI9histogramILN6hipcub23BlockHistogramAlgorithmE0EEyLj256ELj4ELj256ELj100EEvPKT0_PS4_
	.p2align	8
	.type	_Z6kernelI9histogramILN6hipcub23BlockHistogramAlgorithmE0EEyLj256ELj4ELj256ELj100EEvPKT0_PS4_,@function
_Z6kernelI9histogramILN6hipcub23BlockHistogramAlgorithmE0EEyLj256ELj4ELj256ELj100EEvPKT0_PS4_: ; @_Z6kernelI9histogramILN6hipcub23BlockHistogramAlgorithmE0EEyLj256ELj4ELj256ELj100EEvPKT0_PS4_
; %bb.0:
	s_load_dwordx4 s[68:71], s[4:5], 0x0
	v_lshlrev_b32_e32 v1, 2, v0
	v_lshl_or_b32 v2, s6, 10, v1
	v_mov_b32_e32 v1, 0
	v_mov_b32_e32 v3, v1
	v_lshlrev_b64 v[2:3], 3, v[2:3]
	s_waitcnt lgkmcnt(0)
	v_mov_b32_e32 v4, s69
	v_add_co_u32_e32 v2, vcc, s68, v2
	v_addc_co_u32_e32 v3, vcc, v4, v3, vcc
	global_load_dwordx4 v[12:15], v[2:3], off
	global_load_dwordx4 v[15:18], v[2:3], off offset:16
                                        ; kill: killed $vgpr2 killed $vgpr3
	s_movk_i32 s0, 0x100
	v_cmp_gt_u32_e32 vcc, s0, v0
	s_movk_i32 s7, 0x64
	s_waitcnt vmcnt(1)
	v_lshlrev_b32_e32 v2, 30, v12
	v_cmp_gt_i64_e64 s[0:1], 0, v[1:2]
	v_not_b32_e32 v7, v2
	v_lshlrev_b32_e32 v2, 29, v12
	v_cmp_gt_i64_e64 s[4:5], 0, v[1:2]
	v_not_b32_e32 v8, v2
	;; [unrolled: 3-line block ×6, first 2 shown]
	v_lshlrev_b32_e32 v2, 24, v12
	v_cmp_gt_i64_e64 s[14:15], 0, v[1:2]
	s_waitcnt vmcnt(0)
	v_not_b32_e32 v16, v2
	v_lshlrev_b32_e32 v2, 30, v14
	v_cmp_gt_i64_e64 s[16:17], 0, v[1:2]
	v_not_b32_e32 v18, v2
	v_lshlrev_b32_e32 v2, 29, v14
	v_and_b32_e32 v35, 1, v12
	v_lshlrev_b32_e32 v3, 3, v12
	v_ashrrev_i32_e32 v12, 31, v13
	v_ashrrev_i32_e32 v13, 31, v16
	v_cmp_gt_i64_e64 s[18:19], 0, v[1:2]
	v_not_b32_e32 v16, v2
	v_lshlrev_b32_e32 v2, 28, v14
	v_cmp_gt_i64_e64 s[20:21], 0, v[1:2]
	v_not_b32_e32 v19, v2
	v_lshlrev_b32_e32 v2, 27, v14
	;; [unrolled: 3-line block ×17, first 2 shown]
	v_cmp_eq_u32_e64 s[2:3], 1, v35
	v_cmp_gt_i64_e64 s[54:55], 0, v[1:2]
	v_not_b32_e32 v36, v2
	v_lshlrev_b32_e32 v2, 25, v17
	v_add_co_u32_e64 v35, s[68:69], -1, v35
	v_and_b32_e32 v44, 1, v14
	v_and_b32_e32 v54, 1, v17
	v_lshlrev_b32_e32 v6, 3, v17
	v_cmp_gt_i64_e64 s[56:57], 0, v[1:2]
	v_not_b32_e32 v37, v2
	v_lshlrev_b32_e32 v2, 24, v17
	v_ashrrev_i32_e32 v17, 31, v20
	v_ashrrev_i32_e32 v20, 31, v23
	;; [unrolled: 1-line block ×6, first 2 shown]
	v_addc_co_u32_e64 v36, s[68:69], 0, -1, s[68:69]
	v_cmp_eq_u32_e64 s[58:59], 1, v44
	v_add_co_u32_e64 v44, s[68:69], -1, v44
	v_and_b32_e32 v53, 1, v15
	v_addc_co_u32_e64 v45, s[68:69], 0, -1, s[68:69]
	v_cmp_eq_u32_e64 s[60:61], 1, v53
	v_add_co_u32_e64 v53, s[68:69], -1, v53
	v_cmp_gt_i64_e64 s[64:65], 0, v[1:2]
	v_not_b32_e32 v2, v2
	v_addc_co_u32_e64 v55, s[68:69], 0, -1, s[68:69]
	v_lshlrev_b32_e32 v4, 3, v14
	v_lshlrev_b32_e32 v5, 3, v15
	v_ashrrev_i32_e32 v7, 31, v7
	v_ashrrev_i32_e32 v8, 31, v8
	v_ashrrev_i32_e32 v9, 31, v9
	v_ashrrev_i32_e32 v10, 31, v10
	v_ashrrev_i32_e32 v11, 31, v11
	v_ashrrev_i32_e32 v14, 31, v18
	v_ashrrev_i32_e32 v15, 31, v16
	v_ashrrev_i32_e32 v16, 31, v19
	v_ashrrev_i32_e32 v18, 31, v21
	v_ashrrev_i32_e32 v19, 31, v22
	v_ashrrev_i32_e32 v21, 31, v24
	v_ashrrev_i32_e32 v22, 31, v25
	v_ashrrev_i32_e32 v24, 31, v27
	v_ashrrev_i32_e32 v25, 31, v28
	v_ashrrev_i32_e32 v27, 31, v30
	v_ashrrev_i32_e32 v28, 31, v31
	v_ashrrev_i32_e32 v30, 31, v33
	v_ashrrev_i32_e32 v31, 31, v34
	v_ashrrev_i32_e32 v33, 31, v37
	v_ashrrev_i32_e32 v34, 31, v2
	v_add_co_u32_e64 v63, s[68:69], -1, v54
	v_cmp_eq_u32_e64 s[62:63], 1, v54
	v_mov_b32_e32 v37, v7
	v_mov_b32_e32 v38, v8
	;; [unrolled: 1-line block ×21, first 2 shown]
	v_addc_co_u32_e64 v64, s[68:69], 0, -1, s[68:69]
	v_mov_b32_e32 v65, v28
	v_mov_b32_e32 v66, v29
	v_mov_b32_e32 v67, v30
	v_mov_b32_e32 v68, v31
	v_mov_b32_e32 v69, v32
	v_mov_b32_e32 v70, v33
	v_mov_b32_e32 v71, v34
	v_lshlrev_b32_e32 v54, 3, v0
	s_branch .LBB21_2
.LBB21_1:                               ;   in Loop: Header=BB21_2 Depth=1
	s_or_b64 exec, exec, s[72:73]
	s_add_i32 s7, s7, -1
	s_cmp_eq_u32 s7, 0
	s_waitcnt lgkmcnt(0)
	s_barrier
	s_cbranch_scc1 .LBB21_12
.LBB21_2:                               ; =>This Inner Loop Header: Depth=1
	s_and_saveexec_b64 s[68:69], vcc
; %bb.3:                                ;   in Loop: Header=BB21_2 Depth=1
	v_mov_b32_e32 v2, v1
	ds_write_b64 v54, v[1:2]
; %bb.4:                                ;   in Loop: Header=BB21_2 Depth=1
	s_or_b64 exec, exec, s[68:69]
	v_cndmask_b32_e64 v2, 0, 1, s[2:3]
	v_cmp_ne_u32_e64 s[68:69], 0, v2
	v_cndmask_b32_e64 v73, 0, 1, s[0:1]
	v_xor_b32_e32 v2, s69, v36
	v_xor_b32_e32 v72, s68, v35
	v_cmp_ne_u32_e64 s[68:69], 0, v73
	v_and_b32_e32 v2, exec_hi, v2
	v_xor_b32_e32 v73, s69, v37
	v_and_b32_e32 v2, v2, v73
	v_cndmask_b32_e64 v73, 0, 1, s[4:5]
	v_xor_b32_e32 v74, s68, v7
	v_cmp_ne_u32_e64 s[68:69], 0, v73
	v_xor_b32_e32 v73, s69, v38
	v_and_b32_e32 v72, exec_lo, v72
	v_and_b32_e32 v2, v2, v73
	v_cndmask_b32_e64 v73, 0, 1, s[66:67]
	v_and_b32_e32 v72, v72, v74
	v_xor_b32_e32 v74, s68, v8
	v_cmp_ne_u32_e64 s[68:69], 0, v73
	v_xor_b32_e32 v73, s69, v39
	v_and_b32_e32 v2, v2, v73
	v_cndmask_b32_e64 v73, 0, 1, s[8:9]
	v_and_b32_e32 v72, v72, v74
	v_xor_b32_e32 v74, s68, v9
	v_cmp_ne_u32_e64 s[68:69], 0, v73
	v_xor_b32_e32 v73, s69, v40
	;; [unrolled: 6-line block ×4, first 2 shown]
	v_and_b32_e32 v2, v2, v73
	v_cndmask_b32_e64 v73, 0, 1, s[14:15]
	v_and_b32_e32 v72, v72, v74
	v_xor_b32_e32 v74, s68, v12
	v_cmp_ne_u32_e64 s[68:69], 0, v73
	v_and_b32_e32 v72, v72, v74
	v_xor_b32_e32 v74, s68, v13
	v_xor_b32_e32 v73, s69, v43
	v_and_b32_e32 v72, v72, v74
	v_and_b32_e32 v2, v2, v73
	v_mbcnt_lo_u32_b32 v73, v72, 0
	v_mbcnt_hi_u32_b32 v73, v2, v73
	v_cmp_eq_u32_e64 s[68:69], 0, v73
	s_waitcnt lgkmcnt(0)
	s_barrier
	s_and_saveexec_b64 s[72:73], s[68:69]
; %bb.5:                                ;   in Loop: Header=BB21_2 Depth=1
	v_bcnt_u32_b32 v72, v72, 0
	v_bcnt_u32_b32 v72, v2, v72
	v_mov_b32_e32 v73, v1
	ds_add_u64 v3, v[72:73]
; %bb.6:                                ;   in Loop: Header=BB21_2 Depth=1
	s_or_b64 exec, exec, s[72:73]
	v_cndmask_b32_e64 v2, 0, 1, s[58:59]
	v_cmp_ne_u32_e64 s[68:69], 0, v2
	v_cndmask_b32_e64 v73, 0, 1, s[16:17]
	v_xor_b32_e32 v2, s69, v45
	v_xor_b32_e32 v72, s68, v44
	v_cmp_ne_u32_e64 s[68:69], 0, v73
	v_and_b32_e32 v2, exec_hi, v2
	v_xor_b32_e32 v73, s69, v46
	v_and_b32_e32 v2, v2, v73
	v_cndmask_b32_e64 v73, 0, 1, s[18:19]
	v_xor_b32_e32 v74, s68, v14
	v_cmp_ne_u32_e64 s[68:69], 0, v73
	v_xor_b32_e32 v73, s69, v47
	v_and_b32_e32 v72, exec_lo, v72
	v_and_b32_e32 v2, v2, v73
	v_cndmask_b32_e64 v73, 0, 1, s[20:21]
	v_and_b32_e32 v72, v72, v74
	v_xor_b32_e32 v74, s68, v15
	v_cmp_ne_u32_e64 s[68:69], 0, v73
	v_xor_b32_e32 v73, s69, v48
	v_and_b32_e32 v2, v2, v73
	v_cndmask_b32_e64 v73, 0, 1, s[22:23]
	v_and_b32_e32 v72, v72, v74
	v_xor_b32_e32 v74, s68, v16
	v_cmp_ne_u32_e64 s[68:69], 0, v73
	v_xor_b32_e32 v73, s69, v49
	v_and_b32_e32 v2, v2, v73
	v_cndmask_b32_e64 v73, 0, 1, s[24:25]
	v_and_b32_e32 v72, v72, v74
	v_xor_b32_e32 v74, s68, v17
	v_cmp_ne_u32_e64 s[68:69], 0, v73
	v_xor_b32_e32 v73, s69, v50
	v_and_b32_e32 v2, v2, v73
	v_cndmask_b32_e64 v73, 0, 1, s[26:27]
	v_and_b32_e32 v72, v72, v74
	v_xor_b32_e32 v74, s68, v18
	v_cmp_ne_u32_e64 s[68:69], 0, v73
	v_xor_b32_e32 v73, s69, v51
	v_and_b32_e32 v2, v2, v73
	v_cndmask_b32_e64 v73, 0, 1, s[28:29]
	v_and_b32_e32 v72, v72, v74
	v_xor_b32_e32 v74, s68, v19
	v_cmp_ne_u32_e64 s[68:69], 0, v73
	v_and_b32_e32 v72, v72, v74
	v_xor_b32_e32 v74, s68, v20
	v_xor_b32_e32 v73, s69, v52
	v_and_b32_e32 v72, v72, v74
	v_and_b32_e32 v2, v2, v73
	v_mbcnt_lo_u32_b32 v73, v72, 0
	v_mbcnt_hi_u32_b32 v73, v2, v73
	v_cmp_eq_u32_e64 s[68:69], 0, v73
	s_and_saveexec_b64 s[72:73], s[68:69]
; %bb.7:                                ;   in Loop: Header=BB21_2 Depth=1
	v_bcnt_u32_b32 v72, v72, 0
	v_bcnt_u32_b32 v72, v2, v72
	v_mov_b32_e32 v73, v1
	ds_add_u64 v4, v[72:73]
; %bb.8:                                ;   in Loop: Header=BB21_2 Depth=1
	s_or_b64 exec, exec, s[72:73]
	v_cndmask_b32_e64 v2, 0, 1, s[60:61]
	v_cmp_ne_u32_e64 s[68:69], 0, v2
	v_cndmask_b32_e64 v73, 0, 1, s[30:31]
	v_xor_b32_e32 v2, s69, v55
	v_xor_b32_e32 v72, s68, v53
	v_cmp_ne_u32_e64 s[68:69], 0, v73
	v_and_b32_e32 v2, exec_hi, v2
	v_xor_b32_e32 v73, s69, v56
	v_and_b32_e32 v2, v2, v73
	v_cndmask_b32_e64 v73, 0, 1, s[34:35]
	v_xor_b32_e32 v74, s68, v21
	v_cmp_ne_u32_e64 s[68:69], 0, v73
	v_xor_b32_e32 v73, s69, v57
	v_and_b32_e32 v72, exec_lo, v72
	v_and_b32_e32 v2, v2, v73
	v_cndmask_b32_e64 v73, 0, 1, s[36:37]
	v_and_b32_e32 v72, v72, v74
	v_xor_b32_e32 v74, s68, v22
	v_cmp_ne_u32_e64 s[68:69], 0, v73
	v_xor_b32_e32 v73, s69, v58
	v_and_b32_e32 v2, v2, v73
	v_cndmask_b32_e64 v73, 0, 1, s[38:39]
	v_and_b32_e32 v72, v72, v74
	v_xor_b32_e32 v74, s68, v23
	v_cmp_ne_u32_e64 s[68:69], 0, v73
	v_xor_b32_e32 v73, s69, v59
	;; [unrolled: 6-line block ×4, first 2 shown]
	v_and_b32_e32 v2, v2, v73
	v_cndmask_b32_e64 v73, 0, 1, s[44:45]
	v_and_b32_e32 v72, v72, v74
	v_xor_b32_e32 v74, s68, v26
	v_cmp_ne_u32_e64 s[68:69], 0, v73
	v_and_b32_e32 v72, v72, v74
	v_xor_b32_e32 v74, s68, v27
	v_xor_b32_e32 v73, s69, v62
	v_and_b32_e32 v72, v72, v74
	v_and_b32_e32 v2, v2, v73
	v_mbcnt_lo_u32_b32 v73, v72, 0
	v_mbcnt_hi_u32_b32 v73, v2, v73
	v_cmp_eq_u32_e64 s[68:69], 0, v73
	s_and_saveexec_b64 s[72:73], s[68:69]
; %bb.9:                                ;   in Loop: Header=BB21_2 Depth=1
	v_bcnt_u32_b32 v72, v72, 0
	v_bcnt_u32_b32 v72, v2, v72
	v_mov_b32_e32 v73, v1
	ds_add_u64 v5, v[72:73]
; %bb.10:                               ;   in Loop: Header=BB21_2 Depth=1
	s_or_b64 exec, exec, s[72:73]
	v_cndmask_b32_e64 v2, 0, 1, s[62:63]
	v_cmp_ne_u32_e64 s[68:69], 0, v2
	v_cndmask_b32_e64 v73, 0, 1, s[46:47]
	v_xor_b32_e32 v2, s69, v64
	v_xor_b32_e32 v72, s68, v63
	v_cmp_ne_u32_e64 s[68:69], 0, v73
	v_and_b32_e32 v2, exec_hi, v2
	v_xor_b32_e32 v73, s69, v65
	v_and_b32_e32 v2, v2, v73
	v_cndmask_b32_e64 v73, 0, 1, s[48:49]
	v_xor_b32_e32 v74, s68, v28
	v_cmp_ne_u32_e64 s[68:69], 0, v73
	v_xor_b32_e32 v73, s69, v66
	v_and_b32_e32 v72, exec_lo, v72
	v_and_b32_e32 v2, v2, v73
	v_cndmask_b32_e64 v73, 0, 1, s[50:51]
	v_and_b32_e32 v72, v72, v74
	v_xor_b32_e32 v74, s68, v29
	v_cmp_ne_u32_e64 s[68:69], 0, v73
	v_xor_b32_e32 v73, s69, v67
	v_and_b32_e32 v2, v2, v73
	v_cndmask_b32_e64 v73, 0, 1, s[52:53]
	v_and_b32_e32 v72, v72, v74
	v_xor_b32_e32 v74, s68, v30
	v_cmp_ne_u32_e64 s[68:69], 0, v73
	v_xor_b32_e32 v73, s69, v68
	v_and_b32_e32 v2, v2, v73
	v_cndmask_b32_e64 v73, 0, 1, s[54:55]
	v_and_b32_e32 v72, v72, v74
	v_xor_b32_e32 v74, s68, v31
	v_cmp_ne_u32_e64 s[68:69], 0, v73
	v_xor_b32_e32 v73, s69, v69
	v_and_b32_e32 v2, v2, v73
	v_cndmask_b32_e64 v73, 0, 1, s[56:57]
	v_and_b32_e32 v72, v72, v74
	v_xor_b32_e32 v74, s68, v32
	v_cmp_ne_u32_e64 s[68:69], 0, v73
	v_xor_b32_e32 v73, s69, v70
	v_and_b32_e32 v2, v2, v73
	v_cndmask_b32_e64 v73, 0, 1, s[64:65]
	v_and_b32_e32 v72, v72, v74
	v_xor_b32_e32 v74, s68, v33
	v_cmp_ne_u32_e64 s[68:69], 0, v73
	v_and_b32_e32 v72, v72, v74
	v_xor_b32_e32 v74, s68, v34
	v_xor_b32_e32 v73, s69, v71
	v_and_b32_e32 v72, v72, v74
	v_and_b32_e32 v2, v2, v73
	v_mbcnt_lo_u32_b32 v73, v72, 0
	v_mbcnt_hi_u32_b32 v73, v2, v73
	v_cmp_eq_u32_e64 s[68:69], 0, v73
	s_and_saveexec_b64 s[72:73], s[68:69]
	s_cbranch_execz .LBB21_1
; %bb.11:                               ;   in Loop: Header=BB21_2 Depth=1
	v_bcnt_u32_b32 v72, v72, 0
	v_bcnt_u32_b32 v72, v2, v72
	v_mov_b32_e32 v73, v1
	ds_add_u64 v6, v[72:73]
	s_branch .LBB21_1
.LBB21_12:
	s_and_saveexec_b64 s[0:1], vcc
	s_cbranch_execz .LBB21_14
; %bb.13:
	v_lshl_or_b32 v0, s6, 8, v0
	v_mov_b32_e32 v1, 0
	ds_read_b64 v[2:3], v54
	v_lshlrev_b64 v[0:1], 3, v[0:1]
	v_mov_b32_e32 v4, s71
	v_add_co_u32_e32 v0, vcc, s70, v0
	v_addc_co_u32_e32 v1, vcc, v4, v1, vcc
	s_waitcnt lgkmcnt(0)
	global_store_dwordx2 v[0:1], v[2:3], off
.LBB21_14:
	s_endpgm
	.section	.rodata,"a",@progbits
	.p2align	6, 0x0
	.amdhsa_kernel _Z6kernelI9histogramILN6hipcub23BlockHistogramAlgorithmE0EEyLj256ELj4ELj256ELj100EEvPKT0_PS4_
		.amdhsa_group_segment_fixed_size 2048
		.amdhsa_private_segment_fixed_size 0
		.amdhsa_kernarg_size 16
		.amdhsa_user_sgpr_count 6
		.amdhsa_user_sgpr_private_segment_buffer 1
		.amdhsa_user_sgpr_dispatch_ptr 0
		.amdhsa_user_sgpr_queue_ptr 0
		.amdhsa_user_sgpr_kernarg_segment_ptr 1
		.amdhsa_user_sgpr_dispatch_id 0
		.amdhsa_user_sgpr_flat_scratch_init 0
		.amdhsa_user_sgpr_private_segment_size 0
		.amdhsa_uses_dynamic_stack 0
		.amdhsa_system_sgpr_private_segment_wavefront_offset 0
		.amdhsa_system_sgpr_workgroup_id_x 1
		.amdhsa_system_sgpr_workgroup_id_y 0
		.amdhsa_system_sgpr_workgroup_id_z 0
		.amdhsa_system_sgpr_workgroup_info 0
		.amdhsa_system_vgpr_workitem_id 0
		.amdhsa_next_free_vgpr 75
		.amdhsa_next_free_sgpr 74
		.amdhsa_reserve_vcc 1
		.amdhsa_reserve_flat_scratch 0
		.amdhsa_float_round_mode_32 0
		.amdhsa_float_round_mode_16_64 0
		.amdhsa_float_denorm_mode_32 3
		.amdhsa_float_denorm_mode_16_64 3
		.amdhsa_dx10_clamp 1
		.amdhsa_ieee_mode 1
		.amdhsa_fp16_overflow 0
		.amdhsa_exception_fp_ieee_invalid_op 0
		.amdhsa_exception_fp_denorm_src 0
		.amdhsa_exception_fp_ieee_div_zero 0
		.amdhsa_exception_fp_ieee_overflow 0
		.amdhsa_exception_fp_ieee_underflow 0
		.amdhsa_exception_fp_ieee_inexact 0
		.amdhsa_exception_int_div_zero 0
	.end_amdhsa_kernel
	.section	.text._Z6kernelI9histogramILN6hipcub23BlockHistogramAlgorithmE0EEyLj256ELj4ELj256ELj100EEvPKT0_PS4_,"axG",@progbits,_Z6kernelI9histogramILN6hipcub23BlockHistogramAlgorithmE0EEyLj256ELj4ELj256ELj100EEvPKT0_PS4_,comdat
.Lfunc_end21:
	.size	_Z6kernelI9histogramILN6hipcub23BlockHistogramAlgorithmE0EEyLj256ELj4ELj256ELj100EEvPKT0_PS4_, .Lfunc_end21-_Z6kernelI9histogramILN6hipcub23BlockHistogramAlgorithmE0EEyLj256ELj4ELj256ELj100EEvPKT0_PS4_
                                        ; -- End function
	.set _Z6kernelI9histogramILN6hipcub23BlockHistogramAlgorithmE0EEyLj256ELj4ELj256ELj100EEvPKT0_PS4_.num_vgpr, 75
	.set _Z6kernelI9histogramILN6hipcub23BlockHistogramAlgorithmE0EEyLj256ELj4ELj256ELj100EEvPKT0_PS4_.num_agpr, 0
	.set _Z6kernelI9histogramILN6hipcub23BlockHistogramAlgorithmE0EEyLj256ELj4ELj256ELj100EEvPKT0_PS4_.numbered_sgpr, 74
	.set _Z6kernelI9histogramILN6hipcub23BlockHistogramAlgorithmE0EEyLj256ELj4ELj256ELj100EEvPKT0_PS4_.num_named_barrier, 0
	.set _Z6kernelI9histogramILN6hipcub23BlockHistogramAlgorithmE0EEyLj256ELj4ELj256ELj100EEvPKT0_PS4_.private_seg_size, 0
	.set _Z6kernelI9histogramILN6hipcub23BlockHistogramAlgorithmE0EEyLj256ELj4ELj256ELj100EEvPKT0_PS4_.uses_vcc, 1
	.set _Z6kernelI9histogramILN6hipcub23BlockHistogramAlgorithmE0EEyLj256ELj4ELj256ELj100EEvPKT0_PS4_.uses_flat_scratch, 0
	.set _Z6kernelI9histogramILN6hipcub23BlockHistogramAlgorithmE0EEyLj256ELj4ELj256ELj100EEvPKT0_PS4_.has_dyn_sized_stack, 0
	.set _Z6kernelI9histogramILN6hipcub23BlockHistogramAlgorithmE0EEyLj256ELj4ELj256ELj100EEvPKT0_PS4_.has_recursion, 0
	.set _Z6kernelI9histogramILN6hipcub23BlockHistogramAlgorithmE0EEyLj256ELj4ELj256ELj100EEvPKT0_PS4_.has_indirect_call, 0
	.section	.AMDGPU.csdata,"",@progbits
; Kernel info:
; codeLenInByte = 2280
; TotalNumSgprs: 78
; NumVgprs: 75
; ScratchSize: 0
; MemoryBound: 0
; FloatMode: 240
; IeeeMode: 1
; LDSByteSize: 2048 bytes/workgroup (compile time only)
; SGPRBlocks: 9
; VGPRBlocks: 18
; NumSGPRsForWavesPerEU: 78
; NumVGPRsForWavesPerEU: 75
; Occupancy: 3
; WaveLimiterHint : 0
; COMPUTE_PGM_RSRC2:SCRATCH_EN: 0
; COMPUTE_PGM_RSRC2:USER_SGPR: 6
; COMPUTE_PGM_RSRC2:TRAP_HANDLER: 0
; COMPUTE_PGM_RSRC2:TGID_X_EN: 1
; COMPUTE_PGM_RSRC2:TGID_Y_EN: 0
; COMPUTE_PGM_RSRC2:TGID_Z_EN: 0
; COMPUTE_PGM_RSRC2:TIDIG_COMP_CNT: 0
	.section	.text._Z6kernelI9histogramILN6hipcub23BlockHistogramAlgorithmE0EEyLj256ELj8ELj256ELj100EEvPKT0_PS4_,"axG",@progbits,_Z6kernelI9histogramILN6hipcub23BlockHistogramAlgorithmE0EEyLj256ELj8ELj256ELj100EEvPKT0_PS4_,comdat
	.protected	_Z6kernelI9histogramILN6hipcub23BlockHistogramAlgorithmE0EEyLj256ELj8ELj256ELj100EEvPKT0_PS4_ ; -- Begin function _Z6kernelI9histogramILN6hipcub23BlockHistogramAlgorithmE0EEyLj256ELj8ELj256ELj100EEvPKT0_PS4_
	.globl	_Z6kernelI9histogramILN6hipcub23BlockHistogramAlgorithmE0EEyLj256ELj8ELj256ELj100EEvPKT0_PS4_
	.p2align	8
	.type	_Z6kernelI9histogramILN6hipcub23BlockHistogramAlgorithmE0EEyLj256ELj8ELj256ELj100EEvPKT0_PS4_,@function
_Z6kernelI9histogramILN6hipcub23BlockHistogramAlgorithmE0EEyLj256ELj8ELj256ELj100EEvPKT0_PS4_: ; @_Z6kernelI9histogramILN6hipcub23BlockHistogramAlgorithmE0EEyLj256ELj8ELj256ELj100EEvPKT0_PS4_
; %bb.0:
	s_load_dwordx4 s[0:3], s[4:5], 0x0
	v_lshlrev_b32_e32 v5, 3, v0
	v_mov_b32_e32 v1, 0
	v_lshl_or_b32 v2, s6, 11, v5
	v_mov_b32_e32 v3, v1
                                        ; implicit-def: $vgpr148 : SGPR spill to VGPR lane
	v_lshlrev_b64 v[3:4], 3, v[2:3]
	v_writelane_b32 v148, s6, 0
	s_waitcnt lgkmcnt(0)
	v_mov_b32_e32 v2, s1
	v_writelane_b32 v148, s0, 1
	v_add_co_u32_e32 v3, vcc, s0, v3
	v_addc_co_u32_e32 v4, vcc, v2, v4, vcc
	global_load_dwordx4 v[6:9], v[3:4], off
	global_load_dwordx4 v[30:33], v[3:4], off offset:32
	v_writelane_b32 v148, s1, 2
	v_writelane_b32 v148, s2, 3
	;; [unrolled: 1-line block ×3, first 2 shown]
	s_movk_i32 s6, 0x100
	v_cmp_gt_u32_e64 s[36:37], s6, v0
	s_movk_i32 s33, 0x64
	global_load_dwordx4 v[76:79], v[3:4], off offset:48
	s_waitcnt vmcnt(2)
	v_lshlrev_b32_e32 v2, 30, v6
	v_cmp_gt_i64_e64 s[0:1], 0, v[1:2]
	v_not_b32_e32 v14, v2
	v_writelane_b32 v148, s0, 5
	v_lshlrev_b32_e32 v2, 29, v6
	v_writelane_b32 v148, s1, 6
	v_cmp_gt_i64_e64 s[0:1], 0, v[1:2]
	v_not_b32_e32 v15, v2
	v_writelane_b32 v148, s0, 7
	v_lshlrev_b32_e32 v2, 28, v6
	v_writelane_b32 v148, s1, 8
	;; [unrolled: 5-line block ×12, first 2 shown]
	v_cmp_gt_i64_e64 s[0:1], 0, v[1:2]
	v_not_b32_e32 v26, v2
	v_lshlrev_b32_e32 v2, 24, v8
	v_and_b32_e32 v13, 1, v8
	v_lshlrev_b32_e32 v7, 3, v8
	global_load_dwordx4 v[8:11], v[3:4], off offset:16
	v_writelane_b32 v148, s0, 29
	v_writelane_b32 v148, s1, 30
	v_cmp_gt_i64_e64 s[0:1], 0, v[1:2]
	v_not_b32_e32 v27, v2
	v_writelane_b32 v148, s0, 31
	v_writelane_b32 v148, s1, 32
	v_and_b32_e32 v12, 1, v6
	v_add_co_u32_e32 v3, vcc, -1, v12
	s_waitcnt vmcnt(2)
	v_and_b32_e32 v58, 1, v30
	v_and_b32_e32 v59, 1, v32
	s_waitcnt vmcnt(0)
	v_lshlrev_b32_e32 v11, 3, v32
	v_ashrrev_i32_e32 v14, 31, v14
	v_ashrrev_i32_e32 v15, 31, v15
	;; [unrolled: 1-line block ×14, first 2 shown]
	v_lshlrev_b32_e32 v6, 3, v6
	v_mov_b32_e32 v91, v15
	v_mov_b32_e32 v92, v16
	;; [unrolled: 1-line block ×13, first 2 shown]
	v_cmp_eq_u32_e64 s[14:15], 1, v12
	v_cmp_eq_u32_e64 s[16:17], 1, v13
	;; [unrolled: 1-line block ×4, first 2 shown]
	v_and_b32_e32 v146, 1, v76
	v_and_b32_e32 v147, 1, v78
	v_lshlrev_b32_e32 v60, 3, v76
	v_lshlrev_b32_e32 v61, 3, v78
	v_cmp_eq_u32_e64 s[26:27], 1, v146
	v_cmp_eq_u32_e64 s[28:29], 1, v147
	v_lshlrev_b32_e32 v2, 30, v8
	v_cmp_gt_i64_e64 s[0:1], 0, v[1:2]
	v_not_b32_e32 v42, v2
	v_writelane_b32 v148, s0, 33
	v_lshlrev_b32_e32 v2, 29, v8
	v_writelane_b32 v148, s1, 34
	v_cmp_gt_i64_e64 s[0:1], 0, v[1:2]
	v_not_b32_e32 v43, v2
	v_writelane_b32 v148, s0, 35
	v_lshlrev_b32_e32 v2, 28, v8
	v_writelane_b32 v148, s1, 36
	;; [unrolled: 5-line block ×4, first 2 shown]
	v_cmp_gt_i64_e64 s[0:1], 0, v[1:2]
	v_not_b32_e32 v46, v2
	v_lshlrev_b32_e32 v2, 25, v8
	v_cmp_gt_i64_e64 s[38:39], 0, v[1:2]
	v_not_b32_e32 v47, v2
	v_lshlrev_b32_e32 v2, 24, v8
	v_cmp_gt_i64_e64 s[40:41], 0, v[1:2]
	v_not_b32_e32 v48, v2
	v_lshlrev_b32_e32 v2, 30, v10
	v_cmp_gt_i64_e64 s[42:43], 0, v[1:2]
	v_not_b32_e32 v49, v2
	v_lshlrev_b32_e32 v2, 29, v10
	v_cmp_gt_i64_e64 s[44:45], 0, v[1:2]
	v_not_b32_e32 v50, v2
	v_lshlrev_b32_e32 v2, 28, v10
	v_cmp_gt_i64_e64 s[46:47], 0, v[1:2]
	v_not_b32_e32 v51, v2
	v_lshlrev_b32_e32 v2, 27, v10
	v_cmp_gt_i64_e64 s[48:49], 0, v[1:2]
	v_not_b32_e32 v52, v2
	v_lshlrev_b32_e32 v2, 26, v10
	v_cmp_gt_i64_e64 s[50:51], 0, v[1:2]
	v_not_b32_e32 v53, v2
	v_lshlrev_b32_e32 v2, 25, v10
	v_cmp_gt_i64_e64 s[52:53], 0, v[1:2]
	v_not_b32_e32 v54, v2
	v_lshlrev_b32_e32 v2, 24, v10
	v_cmp_gt_i64_e64 s[54:55], 0, v[1:2]
	v_not_b32_e32 v55, v2
	v_lshlrev_b32_e32 v2, 30, v30
	v_cmp_gt_i64_e64 s[56:57], 0, v[1:2]
	v_not_b32_e32 v62, v2
	v_lshlrev_b32_e32 v2, 29, v30
	v_cmp_gt_i64_e64 s[58:59], 0, v[1:2]
	v_not_b32_e32 v63, v2
	v_lshlrev_b32_e32 v2, 28, v30
	v_cmp_gt_i64_e64 s[60:61], 0, v[1:2]
	v_not_b32_e32 v64, v2
	v_lshlrev_b32_e32 v2, 27, v30
	v_cmp_gt_i64_e64 s[62:63], 0, v[1:2]
	v_not_b32_e32 v65, v2
	v_lshlrev_b32_e32 v2, 26, v30
	v_cmp_gt_i64_e64 s[64:65], 0, v[1:2]
	v_not_b32_e32 v66, v2
	v_lshlrev_b32_e32 v2, 25, v30
	v_cmp_gt_i64_e64 s[66:67], 0, v[1:2]
	v_not_b32_e32 v67, v2
	v_lshlrev_b32_e32 v2, 24, v30
	v_cmp_gt_i64_e64 s[68:69], 0, v[1:2]
	v_not_b32_e32 v68, v2
	v_lshlrev_b32_e32 v2, 30, v32
	v_cmp_gt_i64_e64 s[70:71], 0, v[1:2]
	v_not_b32_e32 v69, v2
	v_lshlrev_b32_e32 v2, 29, v32
	v_cmp_gt_i64_e64 s[72:73], 0, v[1:2]
	v_not_b32_e32 v70, v2
	v_lshlrev_b32_e32 v2, 28, v32
	v_cmp_gt_i64_e64 s[74:75], 0, v[1:2]
	v_not_b32_e32 v71, v2
	v_lshlrev_b32_e32 v2, 27, v32
	v_cmp_gt_i64_e64 s[76:77], 0, v[1:2]
	v_not_b32_e32 v72, v2
	v_lshlrev_b32_e32 v2, 26, v32
	v_writelane_b32 v148, s0, 41
	v_cmp_gt_i64_e64 s[78:79], 0, v[1:2]
	v_not_b32_e32 v73, v2
	v_lshlrev_b32_e32 v2, 25, v32
	v_writelane_b32 v148, s1, 42
	v_and_b32_e32 v28, 1, v8
	v_and_b32_e32 v29, 1, v10
	v_lshlrev_b32_e32 v9, 3, v10
	v_cmp_gt_i64_e64 s[80:81], 0, v[1:2]
	v_not_b32_e32 v74, v2
	v_lshlrev_b32_e32 v2, 24, v32
	v_lshlrev_b32_e32 v10, 3, v30
	v_addc_co_u32_e64 v4, s[0:1], 0, -1, vcc
	v_add_co_u32_e32 v30, vcc, -1, v13
	v_cmp_gt_i64_e64 s[82:83], 0, v[1:2]
	v_not_b32_e32 v75, v2
	v_lshlrev_b32_e32 v2, 30, v76
	v_addc_co_u32_e64 v31, s[0:1], 0, -1, vcc
	v_add_co_u32_e32 v32, vcc, -1, v28
	v_cmp_gt_i64_e64 s[84:85], 0, v[1:2]
	v_not_b32_e32 v77, v2
	v_lshlrev_b32_e32 v2, 29, v76
	v_addc_co_u32_e64 v33, s[0:1], 0, -1, vcc
	v_add_co_u32_e32 v34, vcc, -1, v29
	v_addc_co_u32_e64 v35, s[0:1], 0, -1, vcc
	v_add_co_u32_e32 v36, vcc, -1, v58
	v_not_b32_e32 v79, v2
	v_cmp_gt_i64_e64 s[86:87], 0, v[1:2]
	v_lshlrev_b32_e32 v2, 28, v76
	v_addc_co_u32_e64 v37, s[0:1], 0, -1, vcc
	v_add_co_u32_e32 v38, vcc, -1, v59
	v_not_b32_e32 v80, v2
	v_cmp_gt_i64_e64 s[88:89], 0, v[1:2]
	v_lshlrev_b32_e32 v2, 27, v76
	;; [unrolled: 5-line block ×4, first 2 shown]
	v_addc_co_u32_e64 v57, s[0:1], 0, -1, vcc
	v_not_b32_e32 v83, v2
	v_cmp_gt_i64_e64 s[94:95], 0, v[1:2]
	v_lshlrev_b32_e32 v2, 24, v76
	v_not_b32_e32 v84, v2
	v_cmp_gt_i64_e64 s[0:1], 0, v[1:2]
	v_lshlrev_b32_e32 v2, 30, v78
	;; [unrolled: 3-line block ×8, first 2 shown]
	v_ashrrev_i32_e32 v76, 31, v77
	v_ashrrev_i32_e32 v77, 31, v79
	;; [unrolled: 1-line block ×7, first 2 shown]
	v_not_b32_e32 v89, v2
	v_ashrrev_i32_e32 v42, 31, v42
	v_ashrrev_i32_e32 v43, 31, v43
	;; [unrolled: 1-line block ×35, first 2 shown]
	v_cmp_gt_i64_e64 s[30:31], 0, v[1:2]
	v_lshlrev_b32_e32 v8, 3, v8
	v_mov_b32_e32 v90, v14
	v_mov_b32_e32 v104, v42
	;; [unrolled: 1-line block ×43, first 2 shown]
	v_cmp_eq_u32_e64 s[18:19], 1, v28
	v_cmp_eq_u32_e64 s[20:21], 1, v29
	s_branch .LBB22_2
.LBB22_1:                               ;   in Loop: Header=BB22_2 Depth=1
	s_or_b64 exec, exec, s[6:7]
	s_add_i32 s33, s33, -1
	s_cmp_eq_u32 s33, 0
	s_waitcnt lgkmcnt(0)
	s_barrier
	s_cbranch_scc1 .LBB22_20
.LBB22_2:                               ; =>This Inner Loop Header: Depth=1
	s_and_saveexec_b64 s[6:7], s[36:37]
; %bb.3:                                ;   in Loop: Header=BB22_2 Depth=1
	v_mov_b32_e32 v2, v1
	ds_write_b64 v5, v[1:2]
; %bb.4:                                ;   in Loop: Header=BB22_2 Depth=1
	s_or_b64 exec, exec, s[6:7]
	v_readlane_b32 s6, v148, 5
	v_cndmask_b32_e64 v2, 0, 1, s[14:15]
	v_readlane_b32 s7, v148, 6
	v_cmp_ne_u32_e32 vcc, 0, v2
	v_cndmask_b32_e64 v13, 0, 1, s[6:7]
	v_xor_b32_e32 v2, vcc_hi, v4
	v_xor_b32_e32 v12, vcc_lo, v3
	v_cmp_ne_u32_e32 vcc, 0, v13
	v_readlane_b32 s6, v148, 7
	v_and_b32_e32 v2, exec_hi, v2
	v_xor_b32_e32 v13, vcc_hi, v90
	v_readlane_b32 s7, v148, 8
	v_and_b32_e32 v2, v2, v13
	v_cndmask_b32_e64 v13, 0, 1, s[6:7]
	v_xor_b32_e32 v28, vcc_lo, v14
	v_cmp_ne_u32_e32 vcc, 0, v13
	v_readlane_b32 s6, v148, 9
	v_xor_b32_e32 v13, vcc_hi, v91
	v_readlane_b32 s7, v148, 10
	v_and_b32_e32 v12, exec_lo, v12
	v_and_b32_e32 v2, v2, v13
	v_cndmask_b32_e64 v13, 0, 1, s[6:7]
	v_and_b32_e32 v12, v12, v28
	v_xor_b32_e32 v28, vcc_lo, v15
	v_cmp_ne_u32_e32 vcc, 0, v13
	v_readlane_b32 s6, v148, 11
	v_xor_b32_e32 v13, vcc_hi, v92
	v_readlane_b32 s7, v148, 12
	v_and_b32_e32 v2, v2, v13
	v_cndmask_b32_e64 v13, 0, 1, s[6:7]
	v_and_b32_e32 v12, v12, v28
	v_xor_b32_e32 v28, vcc_lo, v16
	v_cmp_ne_u32_e32 vcc, 0, v13
	v_readlane_b32 s6, v148, 13
	v_xor_b32_e32 v13, vcc_hi, v93
	v_readlane_b32 s7, v148, 14
	;; [unrolled: 8-line block ×4, first 2 shown]
	v_and_b32_e32 v2, v2, v13
	v_cndmask_b32_e64 v13, 0, 1, s[6:7]
	v_and_b32_e32 v12, v12, v28
	v_xor_b32_e32 v28, vcc_lo, v19
	v_cmp_ne_u32_e32 vcc, 0, v13
	v_and_b32_e32 v12, v12, v28
	v_xor_b32_e32 v28, vcc_lo, v20
	v_xor_b32_e32 v13, vcc_hi, v96
	v_and_b32_e32 v12, v12, v28
	v_and_b32_e32 v2, v2, v13
	v_mbcnt_lo_u32_b32 v13, v12, 0
	v_mbcnt_hi_u32_b32 v13, v2, v13
	v_cmp_eq_u32_e32 vcc, 0, v13
	s_waitcnt lgkmcnt(0)
	s_barrier
	s_and_saveexec_b64 s[6:7], vcc
; %bb.5:                                ;   in Loop: Header=BB22_2 Depth=1
	v_bcnt_u32_b32 v12, v12, 0
	v_bcnt_u32_b32 v12, v2, v12
	v_mov_b32_e32 v13, v1
	ds_add_u64 v6, v[12:13]
; %bb.6:                                ;   in Loop: Header=BB22_2 Depth=1
	s_or_b64 exec, exec, s[6:7]
	v_readlane_b32 s6, v148, 19
	v_cndmask_b32_e64 v2, 0, 1, s[16:17]
	v_readlane_b32 s7, v148, 20
	v_cmp_ne_u32_e32 vcc, 0, v2
	v_cndmask_b32_e64 v13, 0, 1, s[6:7]
	v_xor_b32_e32 v2, vcc_hi, v31
	v_xor_b32_e32 v12, vcc_lo, v30
	v_cmp_ne_u32_e32 vcc, 0, v13
	v_readlane_b32 s6, v148, 21
	v_and_b32_e32 v2, exec_hi, v2
	v_xor_b32_e32 v13, vcc_hi, v97
	v_readlane_b32 s7, v148, 22
	v_and_b32_e32 v2, v2, v13
	v_cndmask_b32_e64 v13, 0, 1, s[6:7]
	v_xor_b32_e32 v28, vcc_lo, v21
	v_cmp_ne_u32_e32 vcc, 0, v13
	v_readlane_b32 s6, v148, 23
	v_xor_b32_e32 v13, vcc_hi, v98
	v_readlane_b32 s7, v148, 24
	v_and_b32_e32 v12, exec_lo, v12
	v_and_b32_e32 v2, v2, v13
	v_cndmask_b32_e64 v13, 0, 1, s[6:7]
	v_and_b32_e32 v12, v12, v28
	v_xor_b32_e32 v28, vcc_lo, v22
	v_cmp_ne_u32_e32 vcc, 0, v13
	v_readlane_b32 s6, v148, 25
	v_xor_b32_e32 v13, vcc_hi, v99
	v_readlane_b32 s7, v148, 26
	v_and_b32_e32 v2, v2, v13
	v_cndmask_b32_e64 v13, 0, 1, s[6:7]
	v_and_b32_e32 v12, v12, v28
	v_xor_b32_e32 v28, vcc_lo, v23
	v_cmp_ne_u32_e32 vcc, 0, v13
	v_readlane_b32 s6, v148, 27
	v_xor_b32_e32 v13, vcc_hi, v100
	v_readlane_b32 s7, v148, 28
	;; [unrolled: 8-line block ×4, first 2 shown]
	v_and_b32_e32 v2, v2, v13
	v_cndmask_b32_e64 v13, 0, 1, s[6:7]
	v_and_b32_e32 v12, v12, v28
	v_xor_b32_e32 v28, vcc_lo, v26
	v_cmp_ne_u32_e32 vcc, 0, v13
	v_and_b32_e32 v12, v12, v28
	v_xor_b32_e32 v28, vcc_lo, v27
	v_xor_b32_e32 v13, vcc_hi, v103
	v_and_b32_e32 v12, v12, v28
	v_and_b32_e32 v2, v2, v13
	v_mbcnt_lo_u32_b32 v13, v12, 0
	v_mbcnt_hi_u32_b32 v13, v2, v13
	v_cmp_eq_u32_e32 vcc, 0, v13
	s_and_saveexec_b64 s[6:7], vcc
; %bb.7:                                ;   in Loop: Header=BB22_2 Depth=1
	v_bcnt_u32_b32 v12, v12, 0
	v_bcnt_u32_b32 v12, v2, v12
	v_mov_b32_e32 v13, v1
	ds_add_u64 v7, v[12:13]
; %bb.8:                                ;   in Loop: Header=BB22_2 Depth=1
	s_or_b64 exec, exec, s[6:7]
	v_readlane_b32 s6, v148, 33
	v_cndmask_b32_e64 v2, 0, 1, s[18:19]
	v_readlane_b32 s7, v148, 34
	v_cmp_ne_u32_e32 vcc, 0, v2
	v_cndmask_b32_e64 v13, 0, 1, s[6:7]
	v_xor_b32_e32 v2, vcc_hi, v33
	v_xor_b32_e32 v12, vcc_lo, v32
	v_cmp_ne_u32_e32 vcc, 0, v13
	v_readlane_b32 s6, v148, 35
	v_and_b32_e32 v2, exec_hi, v2
	v_xor_b32_e32 v13, vcc_hi, v104
	v_readlane_b32 s7, v148, 36
	v_and_b32_e32 v2, v2, v13
	v_cndmask_b32_e64 v13, 0, 1, s[6:7]
	v_xor_b32_e32 v28, vcc_lo, v42
	v_cmp_ne_u32_e32 vcc, 0, v13
	v_readlane_b32 s6, v148, 37
	v_xor_b32_e32 v13, vcc_hi, v105
	v_readlane_b32 s7, v148, 38
	v_and_b32_e32 v12, exec_lo, v12
	v_and_b32_e32 v2, v2, v13
	v_cndmask_b32_e64 v13, 0, 1, s[6:7]
	v_and_b32_e32 v12, v12, v28
	v_xor_b32_e32 v28, vcc_lo, v43
	v_cmp_ne_u32_e32 vcc, 0, v13
	v_readlane_b32 s6, v148, 39
	v_xor_b32_e32 v13, vcc_hi, v106
	v_readlane_b32 s7, v148, 40
	v_and_b32_e32 v2, v2, v13
	v_cndmask_b32_e64 v13, 0, 1, s[6:7]
	v_and_b32_e32 v12, v12, v28
	v_xor_b32_e32 v28, vcc_lo, v44
	v_cmp_ne_u32_e32 vcc, 0, v13
	v_readlane_b32 s6, v148, 41
	v_xor_b32_e32 v13, vcc_hi, v107
	v_readlane_b32 s7, v148, 42
	v_and_b32_e32 v2, v2, v13
	v_cndmask_b32_e64 v13, 0, 1, s[6:7]
	v_and_b32_e32 v12, v12, v28
	v_xor_b32_e32 v28, vcc_lo, v45
	v_cmp_ne_u32_e32 vcc, 0, v13
	v_xor_b32_e32 v13, vcc_hi, v108
	v_and_b32_e32 v2, v2, v13
	v_cndmask_b32_e64 v13, 0, 1, s[38:39]
	v_and_b32_e32 v12, v12, v28
	v_xor_b32_e32 v28, vcc_lo, v46
	v_cmp_ne_u32_e32 vcc, 0, v13
	v_xor_b32_e32 v13, vcc_hi, v109
	v_and_b32_e32 v2, v2, v13
	v_cndmask_b32_e64 v13, 0, 1, s[40:41]
	v_and_b32_e32 v12, v12, v28
	v_xor_b32_e32 v28, vcc_lo, v47
	v_cmp_ne_u32_e32 vcc, 0, v13
	v_and_b32_e32 v12, v12, v28
	v_xor_b32_e32 v28, vcc_lo, v48
	v_xor_b32_e32 v13, vcc_hi, v110
	v_and_b32_e32 v12, v12, v28
	v_and_b32_e32 v2, v2, v13
	v_mbcnt_lo_u32_b32 v13, v12, 0
	v_mbcnt_hi_u32_b32 v13, v2, v13
	v_cmp_eq_u32_e32 vcc, 0, v13
	s_and_saveexec_b64 s[6:7], vcc
; %bb.9:                                ;   in Loop: Header=BB22_2 Depth=1
	v_bcnt_u32_b32 v12, v12, 0
	v_bcnt_u32_b32 v12, v2, v12
	v_mov_b32_e32 v13, v1
	ds_add_u64 v8, v[12:13]
; %bb.10:                               ;   in Loop: Header=BB22_2 Depth=1
	s_or_b64 exec, exec, s[6:7]
	v_cndmask_b32_e64 v2, 0, 1, s[20:21]
	v_cmp_ne_u32_e32 vcc, 0, v2
	v_cndmask_b32_e64 v13, 0, 1, s[42:43]
	v_xor_b32_e32 v2, vcc_hi, v35
	v_xor_b32_e32 v12, vcc_lo, v34
	v_cmp_ne_u32_e32 vcc, 0, v13
	v_and_b32_e32 v2, exec_hi, v2
	v_xor_b32_e32 v13, vcc_hi, v111
	v_and_b32_e32 v2, v2, v13
	v_cndmask_b32_e64 v13, 0, 1, s[44:45]
	v_xor_b32_e32 v28, vcc_lo, v49
	v_cmp_ne_u32_e32 vcc, 0, v13
	v_xor_b32_e32 v13, vcc_hi, v112
	v_and_b32_e32 v12, exec_lo, v12
	v_and_b32_e32 v2, v2, v13
	v_cndmask_b32_e64 v13, 0, 1, s[46:47]
	v_and_b32_e32 v12, v12, v28
	v_xor_b32_e32 v28, vcc_lo, v50
	v_cmp_ne_u32_e32 vcc, 0, v13
	v_xor_b32_e32 v13, vcc_hi, v113
	v_and_b32_e32 v2, v2, v13
	v_cndmask_b32_e64 v13, 0, 1, s[48:49]
	v_and_b32_e32 v12, v12, v28
	v_xor_b32_e32 v28, vcc_lo, v51
	v_cmp_ne_u32_e32 vcc, 0, v13
	v_xor_b32_e32 v13, vcc_hi, v114
	v_and_b32_e32 v2, v2, v13
	v_cndmask_b32_e64 v13, 0, 1, s[50:51]
	v_and_b32_e32 v12, v12, v28
	v_xor_b32_e32 v28, vcc_lo, v52
	v_cmp_ne_u32_e32 vcc, 0, v13
	v_xor_b32_e32 v13, vcc_hi, v115
	v_and_b32_e32 v2, v2, v13
	v_cndmask_b32_e64 v13, 0, 1, s[52:53]
	v_and_b32_e32 v12, v12, v28
	v_xor_b32_e32 v28, vcc_lo, v53
	v_cmp_ne_u32_e32 vcc, 0, v13
	v_xor_b32_e32 v13, vcc_hi, v116
	v_and_b32_e32 v2, v2, v13
	v_cndmask_b32_e64 v13, 0, 1, s[54:55]
	v_and_b32_e32 v12, v12, v28
	v_xor_b32_e32 v28, vcc_lo, v54
	v_cmp_ne_u32_e32 vcc, 0, v13
	v_and_b32_e32 v12, v12, v28
	v_xor_b32_e32 v28, vcc_lo, v55
	v_xor_b32_e32 v13, vcc_hi, v117
	v_and_b32_e32 v12, v12, v28
	v_and_b32_e32 v2, v2, v13
	v_mbcnt_lo_u32_b32 v13, v12, 0
	v_mbcnt_hi_u32_b32 v13, v2, v13
	v_cmp_eq_u32_e32 vcc, 0, v13
	s_and_saveexec_b64 s[6:7], vcc
; %bb.11:                               ;   in Loop: Header=BB22_2 Depth=1
	v_bcnt_u32_b32 v12, v12, 0
	v_bcnt_u32_b32 v12, v2, v12
	v_mov_b32_e32 v13, v1
	ds_add_u64 v9, v[12:13]
; %bb.12:                               ;   in Loop: Header=BB22_2 Depth=1
	s_or_b64 exec, exec, s[6:7]
	v_cndmask_b32_e64 v2, 0, 1, s[22:23]
	v_cmp_ne_u32_e32 vcc, 0, v2
	v_cndmask_b32_e64 v13, 0, 1, s[56:57]
	v_xor_b32_e32 v2, vcc_hi, v37
	v_xor_b32_e32 v12, vcc_lo, v36
	v_cmp_ne_u32_e32 vcc, 0, v13
	v_and_b32_e32 v2, exec_hi, v2
	v_xor_b32_e32 v13, vcc_hi, v118
	v_and_b32_e32 v2, v2, v13
	v_cndmask_b32_e64 v13, 0, 1, s[58:59]
	v_xor_b32_e32 v28, vcc_lo, v62
	v_cmp_ne_u32_e32 vcc, 0, v13
	v_xor_b32_e32 v13, vcc_hi, v119
	v_and_b32_e32 v12, exec_lo, v12
	v_and_b32_e32 v2, v2, v13
	v_cndmask_b32_e64 v13, 0, 1, s[60:61]
	v_and_b32_e32 v12, v12, v28
	v_xor_b32_e32 v28, vcc_lo, v63
	v_cmp_ne_u32_e32 vcc, 0, v13
	v_xor_b32_e32 v13, vcc_hi, v120
	v_and_b32_e32 v2, v2, v13
	v_cndmask_b32_e64 v13, 0, 1, s[62:63]
	v_and_b32_e32 v12, v12, v28
	v_xor_b32_e32 v28, vcc_lo, v64
	v_cmp_ne_u32_e32 vcc, 0, v13
	v_xor_b32_e32 v13, vcc_hi, v121
	v_and_b32_e32 v2, v2, v13
	v_cndmask_b32_e64 v13, 0, 1, s[64:65]
	v_and_b32_e32 v12, v12, v28
	v_xor_b32_e32 v28, vcc_lo, v65
	v_cmp_ne_u32_e32 vcc, 0, v13
	v_xor_b32_e32 v13, vcc_hi, v122
	v_and_b32_e32 v2, v2, v13
	v_cndmask_b32_e64 v13, 0, 1, s[66:67]
	v_and_b32_e32 v12, v12, v28
	v_xor_b32_e32 v28, vcc_lo, v66
	v_cmp_ne_u32_e32 vcc, 0, v13
	v_xor_b32_e32 v13, vcc_hi, v123
	v_and_b32_e32 v2, v2, v13
	v_cndmask_b32_e64 v13, 0, 1, s[68:69]
	v_and_b32_e32 v12, v12, v28
	v_xor_b32_e32 v28, vcc_lo, v67
	v_cmp_ne_u32_e32 vcc, 0, v13
	v_and_b32_e32 v12, v12, v28
	v_xor_b32_e32 v28, vcc_lo, v68
	v_xor_b32_e32 v13, vcc_hi, v124
	v_and_b32_e32 v12, v12, v28
	v_and_b32_e32 v2, v2, v13
	v_mbcnt_lo_u32_b32 v13, v12, 0
	v_mbcnt_hi_u32_b32 v13, v2, v13
	v_cmp_eq_u32_e32 vcc, 0, v13
	s_and_saveexec_b64 s[6:7], vcc
; %bb.13:                               ;   in Loop: Header=BB22_2 Depth=1
	;; [unrolled: 59-line block ×4, first 2 shown]
	v_bcnt_u32_b32 v12, v12, 0
	v_bcnt_u32_b32 v12, v2, v12
	v_mov_b32_e32 v13, v1
	ds_add_u64 v60, v[12:13]
; %bb.18:                               ;   in Loop: Header=BB22_2 Depth=1
	s_or_b64 exec, exec, s[6:7]
	v_cndmask_b32_e64 v2, 0, 1, s[28:29]
	v_cmp_ne_u32_e32 vcc, 0, v2
	v_cndmask_b32_e64 v13, 0, 1, s[2:3]
	v_xor_b32_e32 v2, vcc_hi, v57
	v_xor_b32_e32 v12, vcc_lo, v56
	v_cmp_ne_u32_e32 vcc, 0, v13
	v_and_b32_e32 v2, exec_hi, v2
	v_xor_b32_e32 v13, vcc_hi, v139
	v_and_b32_e32 v2, v2, v13
	v_cndmask_b32_e64 v13, 0, 1, s[4:5]
	v_xor_b32_e32 v28, vcc_lo, v83
	v_cmp_ne_u32_e32 vcc, 0, v13
	v_xor_b32_e32 v13, vcc_hi, v140
	v_and_b32_e32 v12, exec_lo, v12
	v_and_b32_e32 v2, v2, v13
	v_cndmask_b32_e64 v13, 0, 1, s[34:35]
	v_and_b32_e32 v12, v12, v28
	v_xor_b32_e32 v28, vcc_lo, v84
	v_cmp_ne_u32_e32 vcc, 0, v13
	v_xor_b32_e32 v13, vcc_hi, v141
	v_and_b32_e32 v2, v2, v13
	v_cndmask_b32_e64 v13, 0, 1, s[8:9]
	v_and_b32_e32 v12, v12, v28
	v_xor_b32_e32 v28, vcc_lo, v85
	v_cmp_ne_u32_e32 vcc, 0, v13
	v_xor_b32_e32 v13, vcc_hi, v142
	;; [unrolled: 6-line block ×4, first 2 shown]
	v_and_b32_e32 v2, v2, v13
	v_cndmask_b32_e64 v13, 0, 1, s[30:31]
	v_and_b32_e32 v12, v12, v28
	v_xor_b32_e32 v28, vcc_lo, v88
	v_cmp_ne_u32_e32 vcc, 0, v13
	v_and_b32_e32 v12, v12, v28
	v_xor_b32_e32 v28, vcc_lo, v89
	v_xor_b32_e32 v13, vcc_hi, v145
	v_and_b32_e32 v12, v12, v28
	v_and_b32_e32 v2, v2, v13
	v_mbcnt_lo_u32_b32 v13, v12, 0
	v_mbcnt_hi_u32_b32 v13, v2, v13
	v_cmp_eq_u32_e32 vcc, 0, v13
	s_and_saveexec_b64 s[6:7], vcc
	s_cbranch_execz .LBB22_1
; %bb.19:                               ;   in Loop: Header=BB22_2 Depth=1
	v_bcnt_u32_b32 v12, v12, 0
	v_bcnt_u32_b32 v12, v2, v12
	v_mov_b32_e32 v13, v1
	ds_add_u64 v61, v[12:13]
	s_branch .LBB22_1
.LBB22_20:
	s_and_saveexec_b64 s[0:1], s[36:37]
	s_cbranch_execz .LBB22_22
; %bb.21:
	v_readlane_b32 s0, v148, 0
	v_lshl_or_b32 v0, s0, 8, v0
	v_mov_b32_e32 v1, 0
	ds_read_b64 v[2:3], v5
	v_lshlrev_b64 v[0:1], 3, v[0:1]
	v_readlane_b32 s0, v148, 1
	v_readlane_b32 s2, v148, 3
	;; [unrolled: 1-line block ×3, first 2 shown]
	v_mov_b32_e32 v4, s3
	v_add_co_u32_e32 v0, vcc, s2, v0
	v_addc_co_u32_e32 v1, vcc, v4, v1, vcc
	v_readlane_b32 s1, v148, 2
	s_waitcnt lgkmcnt(0)
	global_store_dwordx2 v[0:1], v[2:3], off
.LBB22_22:
	s_endpgm
	.section	.rodata,"a",@progbits
	.p2align	6, 0x0
	.amdhsa_kernel _Z6kernelI9histogramILN6hipcub23BlockHistogramAlgorithmE0EEyLj256ELj8ELj256ELj100EEvPKT0_PS4_
		.amdhsa_group_segment_fixed_size 2048
		.amdhsa_private_segment_fixed_size 0
		.amdhsa_kernarg_size 16
		.amdhsa_user_sgpr_count 6
		.amdhsa_user_sgpr_private_segment_buffer 1
		.amdhsa_user_sgpr_dispatch_ptr 0
		.amdhsa_user_sgpr_queue_ptr 0
		.amdhsa_user_sgpr_kernarg_segment_ptr 1
		.amdhsa_user_sgpr_dispatch_id 0
		.amdhsa_user_sgpr_flat_scratch_init 0
		.amdhsa_user_sgpr_private_segment_size 0
		.amdhsa_uses_dynamic_stack 0
		.amdhsa_system_sgpr_private_segment_wavefront_offset 0
		.amdhsa_system_sgpr_workgroup_id_x 1
		.amdhsa_system_sgpr_workgroup_id_y 0
		.amdhsa_system_sgpr_workgroup_id_z 0
		.amdhsa_system_sgpr_workgroup_info 0
		.amdhsa_system_vgpr_workitem_id 0
		.amdhsa_next_free_vgpr 149
		.amdhsa_next_free_sgpr 96
		.amdhsa_reserve_vcc 1
		.amdhsa_reserve_flat_scratch 0
		.amdhsa_float_round_mode_32 0
		.amdhsa_float_round_mode_16_64 0
		.amdhsa_float_denorm_mode_32 3
		.amdhsa_float_denorm_mode_16_64 3
		.amdhsa_dx10_clamp 1
		.amdhsa_ieee_mode 1
		.amdhsa_fp16_overflow 0
		.amdhsa_exception_fp_ieee_invalid_op 0
		.amdhsa_exception_fp_denorm_src 0
		.amdhsa_exception_fp_ieee_div_zero 0
		.amdhsa_exception_fp_ieee_overflow 0
		.amdhsa_exception_fp_ieee_underflow 0
		.amdhsa_exception_fp_ieee_inexact 0
		.amdhsa_exception_int_div_zero 0
	.end_amdhsa_kernel
	.section	.text._Z6kernelI9histogramILN6hipcub23BlockHistogramAlgorithmE0EEyLj256ELj8ELj256ELj100EEvPKT0_PS4_,"axG",@progbits,_Z6kernelI9histogramILN6hipcub23BlockHistogramAlgorithmE0EEyLj256ELj8ELj256ELj100EEvPKT0_PS4_,comdat
.Lfunc_end22:
	.size	_Z6kernelI9histogramILN6hipcub23BlockHistogramAlgorithmE0EEyLj256ELj8ELj256ELj100EEvPKT0_PS4_, .Lfunc_end22-_Z6kernelI9histogramILN6hipcub23BlockHistogramAlgorithmE0EEyLj256ELj8ELj256ELj100EEvPKT0_PS4_
                                        ; -- End function
	.set _Z6kernelI9histogramILN6hipcub23BlockHistogramAlgorithmE0EEyLj256ELj8ELj256ELj100EEvPKT0_PS4_.num_vgpr, 149
	.set _Z6kernelI9histogramILN6hipcub23BlockHistogramAlgorithmE0EEyLj256ELj8ELj256ELj100EEvPKT0_PS4_.num_agpr, 0
	.set _Z6kernelI9histogramILN6hipcub23BlockHistogramAlgorithmE0EEyLj256ELj8ELj256ELj100EEvPKT0_PS4_.numbered_sgpr, 96
	.set _Z6kernelI9histogramILN6hipcub23BlockHistogramAlgorithmE0EEyLj256ELj8ELj256ELj100EEvPKT0_PS4_.num_named_barrier, 0
	.set _Z6kernelI9histogramILN6hipcub23BlockHistogramAlgorithmE0EEyLj256ELj8ELj256ELj100EEvPKT0_PS4_.private_seg_size, 0
	.set _Z6kernelI9histogramILN6hipcub23BlockHistogramAlgorithmE0EEyLj256ELj8ELj256ELj100EEvPKT0_PS4_.uses_vcc, 1
	.set _Z6kernelI9histogramILN6hipcub23BlockHistogramAlgorithmE0EEyLj256ELj8ELj256ELj100EEvPKT0_PS4_.uses_flat_scratch, 0
	.set _Z6kernelI9histogramILN6hipcub23BlockHistogramAlgorithmE0EEyLj256ELj8ELj256ELj100EEvPKT0_PS4_.has_dyn_sized_stack, 0
	.set _Z6kernelI9histogramILN6hipcub23BlockHistogramAlgorithmE0EEyLj256ELj8ELj256ELj100EEvPKT0_PS4_.has_recursion, 0
	.set _Z6kernelI9histogramILN6hipcub23BlockHistogramAlgorithmE0EEyLj256ELj8ELj256ELj100EEvPKT0_PS4_.has_indirect_call, 0
	.section	.AMDGPU.csdata,"",@progbits
; Kernel info:
; codeLenInByte = 4732
; TotalNumSgprs: 100
; NumVgprs: 149
; ScratchSize: 0
; MemoryBound: 0
; FloatMode: 240
; IeeeMode: 1
; LDSByteSize: 2048 bytes/workgroup (compile time only)
; SGPRBlocks: 12
; VGPRBlocks: 37
; NumSGPRsForWavesPerEU: 100
; NumVGPRsForWavesPerEU: 149
; Occupancy: 1
; WaveLimiterHint : 0
; COMPUTE_PGM_RSRC2:SCRATCH_EN: 0
; COMPUTE_PGM_RSRC2:USER_SGPR: 6
; COMPUTE_PGM_RSRC2:TRAP_HANDLER: 0
; COMPUTE_PGM_RSRC2:TGID_X_EN: 1
; COMPUTE_PGM_RSRC2:TGID_Y_EN: 0
; COMPUTE_PGM_RSRC2:TGID_Z_EN: 0
; COMPUTE_PGM_RSRC2:TIDIG_COMP_CNT: 0
	.section	.text._Z6kernelI9histogramILN6hipcub23BlockHistogramAlgorithmE0EEyLj256ELj16ELj256ELj100EEvPKT0_PS4_,"axG",@progbits,_Z6kernelI9histogramILN6hipcub23BlockHistogramAlgorithmE0EEyLj256ELj16ELj256ELj100EEvPKT0_PS4_,comdat
	.protected	_Z6kernelI9histogramILN6hipcub23BlockHistogramAlgorithmE0EEyLj256ELj16ELj256ELj100EEvPKT0_PS4_ ; -- Begin function _Z6kernelI9histogramILN6hipcub23BlockHistogramAlgorithmE0EEyLj256ELj16ELj256ELj100EEvPKT0_PS4_
	.globl	_Z6kernelI9histogramILN6hipcub23BlockHistogramAlgorithmE0EEyLj256ELj16ELj256ELj100EEvPKT0_PS4_
	.p2align	8
	.type	_Z6kernelI9histogramILN6hipcub23BlockHistogramAlgorithmE0EEyLj256ELj16ELj256ELj100EEvPKT0_PS4_,@function
_Z6kernelI9histogramILN6hipcub23BlockHistogramAlgorithmE0EEyLj256ELj16ELj256ELj100EEvPKT0_PS4_: ; @_Z6kernelI9histogramILN6hipcub23BlockHistogramAlgorithmE0EEyLj256ELj16ELj256ELj100EEvPKT0_PS4_
; %bb.0:
	s_mov_b64 s[98:99], s[2:3]
	s_mov_b64 s[96:97], s[0:1]
	s_load_dwordx4 s[0:3], s[4:5], 0x0
	v_lshlrev_b32_e32 v1, 4, v0
	v_mov_b32_e32 v24, 0
	v_lshl_or_b32 v1, s6, 12, v1
	v_mov_b32_e32 v2, v24
                                        ; implicit-def: $vgpr253 : SGPR spill to VGPR lane
	v_lshlrev_b64 v[3:4], 3, v[1:2]
	v_writelane_b32 v253, s6, 0
	s_waitcnt lgkmcnt(0)
	v_mov_b32_e32 v2, s1
	v_writelane_b32 v253, s0, 1
	v_add_co_u32_e32 v26, vcc, s0, v3
	v_addc_co_u32_e32 v27, vcc, v2, v4, vcc
	global_load_dwordx4 v[20:23], v[26:27], off
	global_load_dwordx4 v[1:4], v[26:27], off offset:16
	v_writelane_b32 v253, s1, 2
	v_writelane_b32 v253, s2, 3
	;; [unrolled: 1-line block ×3, first 2 shown]
	global_load_dwordx4 v[4:7], v[26:27], off offset:32
	global_load_dwordx4 v[7:10], v[26:27], off offset:48
	;; [unrolled: 1-line block ×5, first 2 shown]
	s_add_u32 s96, s96, s7
	s_addc_u32 s97, s97, 0
                                        ; implicit-def: $vgpr254 : SGPR spill to VGPR lane
                                        ; implicit-def: $vgpr255 : SGPR spill to VGPR lane
	s_movk_i32 s6, 0x100
	buffer_store_dword v0, off, s[96:99], 0 offset:100 ; 4-byte Folded Spill
	v_cmp_gt_u32_e64 s[70:71], s6, v0
	s_movk_i32 s33, 0x64
	s_waitcnt vmcnt(7)
	v_lshlrev_b32_e32 v25, 30, v20
	v_cmp_gt_i64_e64 s[0:1], 0, v[24:25]
	v_not_b32_e32 v52, v25
	v_writelane_b32 v253, s0, 5
	v_lshlrev_b32_e32 v25, 29, v20
	v_writelane_b32 v253, s1, 6
	v_cmp_gt_i64_e64 s[0:1], 0, v[24:25]
	v_not_b32_e32 v53, v25
	v_writelane_b32 v253, s0, 7
	v_lshlrev_b32_e32 v25, 28, v20
	v_writelane_b32 v253, s1, 8
	;; [unrolled: 5-line block ×7, first 2 shown]
	v_cmp_gt_i64_e64 s[0:1], 0, v[24:25]
	s_waitcnt vmcnt(5)
	v_not_b32_e32 v5, v25
	v_writelane_b32 v253, s0, 19
	v_lshlrev_b32_e32 v25, 29, v22
	v_writelane_b32 v253, s1, 20
	v_cmp_gt_i64_e64 s[0:1], 0, v[24:25]
	s_waitcnt vmcnt(3)
	v_not_b32_e32 v11, v25
	v_writelane_b32 v253, s0, 21
	v_lshlrev_b32_e32 v25, 28, v22
	v_writelane_b32 v253, s1, 22
	;; [unrolled: 6-line block ×3, first 2 shown]
	v_cmp_gt_i64_e64 s[0:1], 0, v[24:25]
	v_not_b32_e32 v69, v25
	v_writelane_b32 v253, s0, 25
	v_lshlrev_b32_e32 v25, 26, v22
	v_writelane_b32 v253, s1, 26
	v_cmp_gt_i64_e64 s[0:1], 0, v[24:25]
	v_not_b32_e32 v70, v25
	v_writelane_b32 v253, s0, 27
	v_lshlrev_b32_e32 v25, 25, v22
	v_writelane_b32 v253, s1, 28
	;; [unrolled: 5-line block ×7, first 2 shown]
	v_cmp_gt_i64_e64 s[0:1], 0, v[24:25]
	v_and_b32_e32 v163, 1, v20
	v_lshlrev_b32_e32 v252, 3, v20
	v_and_b32_e32 v162, 1, v22
	v_lshlrev_b32_e32 v2, 3, v22
	v_writelane_b32 v253, s0, 39
	v_not_b32_e32 v76, v25
	v_lshlrev_b32_e32 v25, 26, v1
	global_load_dwordx4 v[19:22], v[26:27], off offset:112
	v_writelane_b32 v253, s1, 40
	v_cmp_gt_i64_e64 s[0:1], 0, v[24:25]
	v_not_b32_e32 v77, v25
	v_writelane_b32 v253, s0, 41
	v_lshlrev_b32_e32 v25, 25, v1
	v_writelane_b32 v253, s1, 42
	v_cmp_gt_i64_e64 s[0:1], 0, v[24:25]
	v_not_b32_e32 v90, v25
	v_writelane_b32 v253, s0, 43
	v_lshlrev_b32_e32 v25, 24, v1
	v_writelane_b32 v253, s1, 44
	v_cmp_gt_i64_e64 s[0:1], 0, v[24:25]
	buffer_store_dword v2, off, s[96:99], 0 offset:40 ; 4-byte Folded Spill
	v_writelane_b32 v253, s0, 45
	v_not_b32_e32 v2, v25
	v_lshlrev_b32_e32 v25, 30, v3
	v_writelane_b32 v253, s1, 46
	v_cmp_gt_i64_e64 s[0:1], 0, v[24:25]
	v_not_b32_e32 v8, v25
	v_writelane_b32 v253, s0, 47
	v_lshlrev_b32_e32 v25, 29, v3
	v_writelane_b32 v253, s1, 48
	v_cmp_gt_i64_e64 s[0:1], 0, v[24:25]
	v_not_b32_e32 v14, v25
	v_writelane_b32 v253, s0, 49
	;; [unrolled: 5-line block ×14, first 2 shown]
	v_lshlrev_b32_e32 v25, 30, v6
	v_writelane_b32 v254, s1, 10
	v_cmp_gt_i64_e64 s[0:1], 0, v[24:25]
	s_waitcnt vmcnt(1)
	v_not_b32_e32 v20, v25
	v_writelane_b32 v254, s0, 11
	v_lshlrev_b32_e32 v25, 29, v6
	v_writelane_b32 v254, s1, 12
	v_cmp_gt_i64_e64 s[0:1], 0, v[24:25]
	v_not_b32_e32 v107, v25
	v_writelane_b32 v254, s0, 13
	v_lshlrev_b32_e32 v25, 28, v6
	v_writelane_b32 v254, s1, 14
	v_cmp_gt_i64_e64 s[0:1], 0, v[24:25]
	v_add_co_u32_e32 v22, vcc, -1, v163
	v_writelane_b32 v254, s0, 15
	v_writelane_b32 v254, s1, 16
	buffer_store_dword v22, off, s[96:99], 0 ; 4-byte Folded Spill
	v_addc_co_u32_e64 v22, s[0:1], 0, -1, vcc
	buffer_store_dword v22, off, s[96:99], 0 offset:4 ; 4-byte Folded Spill
	v_add_co_u32_e32 v22, vcc, -1, v162
	v_and_b32_e32 v161, 1, v1
	buffer_store_dword v22, off, s[96:99], 0 offset:8 ; 4-byte Folded Spill
	v_addc_co_u32_e64 v22, s[0:1], 0, -1, vcc
	buffer_store_dword v22, off, s[96:99], 0 offset:12 ; 4-byte Folded Spill
	v_add_co_u32_e32 v22, vcc, -1, v161
	v_and_b32_e32 v160, 1, v3
	buffer_store_dword v22, off, s[96:99], 0 offset:16 ; 4-byte Folded Spill
	v_addc_co_u32_e64 v22, s[0:1], 0, -1, vcc
	buffer_store_dword v22, off, s[96:99], 0 offset:20 ; 4-byte Folded Spill
	v_add_co_u32_e32 v22, vcc, -1, v160
	v_and_b32_e32 v165, 1, v4
	buffer_store_dword v22, off, s[96:99], 0 offset:24 ; 4-byte Folded Spill
	v_addc_co_u32_e64 v22, s[0:1], 0, -1, vcc
	v_and_b32_e32 v164, 1, v6
	buffer_store_dword v22, off, s[96:99], 0 offset:28 ; 4-byte Folded Spill
	v_add_co_u32_e32 v22, vcc, -1, v165
	v_addc_co_u32_e64 v28, s[0:1], 0, -1, vcc
	v_add_co_u32_e32 v29, vcc, -1, v164
	v_and_b32_e32 v170, 1, v7
	v_addc_co_u32_e64 v30, s[0:1], 0, -1, vcc
	v_add_co_u32_e32 v31, vcc, -1, v170
	v_and_b32_e32 v171, 1, v9
	;; [unrolled: 3-line block ×5, first 2 shown]
	v_addc_co_u32_e64 v38, s[0:1], 0, -1, vcc
	v_and_b32_e32 v168, 1, v15
	v_add_co_u32_e32 v39, vcc, -1, v169
	v_and_b32_e32 v167, 1, v16
	v_addc_co_u32_e64 v40, s[0:1], 0, -1, vcc
	v_add_co_u32_e32 v41, vcc, -1, v168
	v_and_b32_e32 v166, 1, v18
	v_addc_co_u32_e64 v42, s[0:1], 0, -1, vcc
	v_add_co_u32_e32 v43, vcc, -1, v167
	v_addc_co_u32_e64 v44, s[0:1], 0, -1, vcc
	v_add_co_u32_e32 v45, vcc, -1, v166
	v_not_b32_e32 v108, v25
	v_lshlrev_b32_e32 v25, 27, v6
	v_addc_co_u32_e64 v46, s[0:1], 0, -1, vcc
	v_cmp_gt_i64_e64 s[0:1], 0, v[24:25]
	v_and_b32_e32 v175, 1, v19
	v_writelane_b32 v254, s0, 17
	v_and_b32_e32 v174, 1, v21
	v_add_co_u32_e32 v47, vcc, -1, v175
	v_writelane_b32 v254, s1, 18
	v_addc_co_u32_e64 v48, s[0:1], 0, -1, vcc
	v_add_co_u32_e32 v49, vcc, -1, v174
	buffer_store_dword v22, off, s[96:99], 0 offset:32 ; 4-byte Folded Spill
	v_not_b32_e32 v22, v25
	v_lshlrev_b32_e32 v25, 26, v6
	v_addc_co_u32_e64 v50, s[0:1], 0, -1, vcc
	v_cmp_gt_i64_e64 s[0:1], 0, v[24:25]
	v_not_b32_e32 v23, v25
	v_writelane_b32 v254, s0, 19
	v_lshlrev_b32_e32 v25, 25, v6
	v_writelane_b32 v254, s1, 20
	v_cmp_gt_i64_e64 s[0:1], 0, v[24:25]
	v_not_b32_e32 v111, v25
	v_writelane_b32 v254, s0, 21
	v_lshlrev_b32_e32 v25, 24, v6
	v_writelane_b32 v254, s1, 22
	v_cmp_gt_i64_e64 s[0:1], 0, v[24:25]
	v_not_b32_e32 v112, v25
	v_writelane_b32 v254, s0, 23
	v_lshlrev_b32_e32 v25, 30, v7
	v_writelane_b32 v254, s1, 24
	v_cmp_gt_i64_e64 s[0:1], 0, v[24:25]
	v_not_b32_e32 v113, v25
	v_writelane_b32 v254, s0, 25
	v_lshlrev_b32_e32 v25, 29, v7
	v_writelane_b32 v254, s1, 26
	v_lshlrev_b32_e32 v1, 3, v1
	v_cmp_gt_i64_e64 s[0:1], 0, v[24:25]
	buffer_store_dword v1, off, s[96:99], 0 offset:44 ; 4-byte Folded Spill
	v_lshlrev_b32_e32 v1, 3, v4
	buffer_store_dword v1, off, s[96:99], 0 offset:48 ; 4-byte Folded Spill
	v_not_b32_e32 v1, v25
	v_writelane_b32 v254, s0, 27
	v_lshlrev_b32_e32 v25, 28, v7
	v_lshlrev_b32_e32 v3, 3, v3
	v_writelane_b32 v254, s1, 28
	v_cmp_gt_i64_e64 s[0:1], 0, v[24:25]
	buffer_store_dword v3, off, s[96:99], 0 offset:52 ; 4-byte Folded Spill
	v_lshlrev_b32_e32 v3, 3, v6
	buffer_store_dword v3, off, s[96:99], 0 offset:56 ; 4-byte Folded Spill
	v_not_b32_e32 v3, v25
	v_writelane_b32 v254, s0, 29
	v_lshlrev_b32_e32 v25, 27, v7
	v_writelane_b32 v254, s1, 30
	v_cmp_gt_i64_e64 s[0:1], 0, v[24:25]
	v_not_b32_e32 v4, v25
	v_writelane_b32 v254, s0, 31
	v_lshlrev_b32_e32 v25, 26, v7
	v_writelane_b32 v254, s1, 32
	v_cmp_gt_i64_e64 s[0:1], 0, v[24:25]
	;; [unrolled: 5-line block ×10, first 2 shown]
	v_not_b32_e32 v125, v25
	v_writelane_b32 v254, s0, 49
	v_lshlrev_b32_e32 v25, 24, v9
	v_writelane_b32 v254, s1, 50
	v_lshlrev_b32_e32 v7, 3, v7
	v_cmp_gt_i64_e64 s[0:1], 0, v[24:25]
	buffer_store_dword v7, off, s[96:99], 0 offset:60 ; 4-byte Folded Spill
	v_lshlrev_b32_e32 v7, 3, v9
	buffer_store_dword v7, off, s[96:99], 0 offset:64 ; 4-byte Folded Spill
	v_not_b32_e32 v7, v25
	v_writelane_b32 v254, s0, 51
	v_lshlrev_b32_e32 v25, 30, v10
	v_writelane_b32 v254, s1, 52
	v_cmp_gt_i64_e64 s[0:1], 0, v[24:25]
	v_not_b32_e32 v9, v25
	v_writelane_b32 v254, s0, 53
	v_lshlrev_b32_e32 v25, 29, v10
	v_writelane_b32 v254, s1, 54
	v_cmp_gt_i64_e64 s[0:1], 0, v[24:25]
	;; [unrolled: 5-line block ×13, first 2 shown]
	v_not_b32_e32 v139, v25
	v_writelane_b32 v255, s0, 13
	v_lshlrev_b32_e32 v25, 24, v12
	v_writelane_b32 v255, s1, 14
	v_lshlrev_b32_e32 v10, 3, v10
	v_cmp_gt_i64_e64 s[0:1], 0, v[24:25]
	buffer_store_dword v10, off, s[96:99], 0 offset:68 ; 4-byte Folded Spill
	v_lshlrev_b32_e32 v10, 3, v12
	buffer_store_dword v10, off, s[96:99], 0 offset:72 ; 4-byte Folded Spill
	v_not_b32_e32 v10, v25
	v_writelane_b32 v255, s0, 15
	v_lshlrev_b32_e32 v25, 30, v13
	v_writelane_b32 v255, s1, 16
	v_cmp_gt_i64_e64 s[0:1], 0, v[24:25]
	v_not_b32_e32 v12, v25
	v_writelane_b32 v255, s0, 17
	v_lshlrev_b32_e32 v25, 29, v13
	v_writelane_b32 v255, s1, 18
	v_cmp_gt_i64_e64 s[0:1], 0, v[24:25]
	v_not_b32_e32 v142, v25
	v_writelane_b32 v255, s0, 19
	v_lshlrev_b32_e32 v25, 28, v13
	v_writelane_b32 v255, s1, 20
	v_cmp_gt_i64_e64 s[0:1], 0, v[24:25]
	v_not_b32_e32 v143, v25
	v_writelane_b32 v255, s0, 21
	v_lshlrev_b32_e32 v25, 27, v13
	v_writelane_b32 v255, s1, 22
	v_cmp_gt_i64_e64 s[0:1], 0, v[24:25]
	v_not_b32_e32 v144, v25
	v_writelane_b32 v255, s0, 23
	v_lshlrev_b32_e32 v25, 26, v13
	v_writelane_b32 v255, s1, 24
	v_cmp_gt_i64_e64 s[0:1], 0, v[24:25]
	v_not_b32_e32 v145, v25
	v_writelane_b32 v255, s0, 25
	v_lshlrev_b32_e32 v25, 25, v13
	v_writelane_b32 v255, s1, 26
	v_cmp_gt_i64_e64 s[0:1], 0, v[24:25]
	v_not_b32_e32 v146, v25
	v_writelane_b32 v255, s0, 27
	v_lshlrev_b32_e32 v25, 24, v13
	v_writelane_b32 v255, s1, 28
	v_cmp_gt_i64_e64 s[0:1], 0, v[24:25]
	v_not_b32_e32 v147, v25
	v_writelane_b32 v255, s0, 29
	v_lshlrev_b32_e32 v25, 30, v15
	v_writelane_b32 v255, s1, 30
	v_cmp_gt_i64_e64 s[0:1], 0, v[24:25]
	v_not_b32_e32 v148, v25
	v_writelane_b32 v255, s0, 31
	v_lshlrev_b32_e32 v25, 29, v15
	v_writelane_b32 v255, s1, 32
	v_cmp_gt_i64_e64 s[0:1], 0, v[24:25]
	v_not_b32_e32 v149, v25
	v_writelane_b32 v255, s0, 33
	v_lshlrev_b32_e32 v25, 28, v15
	v_writelane_b32 v255, s1, 34
	v_cmp_gt_i64_e64 s[0:1], 0, v[24:25]
	v_not_b32_e32 v150, v25
	v_writelane_b32 v255, s0, 35
	v_lshlrev_b32_e32 v25, 27, v15
	v_writelane_b32 v255, s1, 36
	v_cmp_gt_i64_e64 s[0:1], 0, v[24:25]
	v_not_b32_e32 v151, v25
	v_writelane_b32 v255, s0, 37
	v_lshlrev_b32_e32 v25, 26, v15
	v_writelane_b32 v255, s1, 38
	v_cmp_gt_i64_e64 s[0:1], 0, v[24:25]
	v_not_b32_e32 v152, v25
	v_writelane_b32 v255, s0, 39
	v_lshlrev_b32_e32 v25, 25, v15
	v_lshlrev_b32_e32 v13, 3, v13
	v_writelane_b32 v255, s1, 40
	v_not_b32_e32 v153, v25
	v_cmp_gt_i64_e64 s[0:1], 0, v[24:25]
	v_lshlrev_b32_e32 v25, 24, v15
	buffer_store_dword v13, off, s[96:99], 0 offset:76 ; 4-byte Folded Spill
	v_lshlrev_b32_e32 v13, 3, v15
	buffer_store_dword v13, off, s[96:99], 0 offset:80 ; 4-byte Folded Spill
	v_not_b32_e32 v13, v25
	v_cmp_gt_i64_e64 s[72:73], 0, v[24:25]
	v_lshlrev_b32_e32 v25, 30, v16
	v_not_b32_e32 v15, v25
	v_cmp_gt_i64_e64 s[74:75], 0, v[24:25]
	v_lshlrev_b32_e32 v25, 29, v16
	;; [unrolled: 3-line block ×11, first 2 shown]
	v_writelane_b32 v255, s0, 41
	v_not_b32_e32 v181, v25
	v_cmp_gt_i64_e64 s[94:95], 0, v[24:25]
	v_lshlrev_b32_e32 v25, 26, v18
	v_writelane_b32 v255, s1, 42
	v_not_b32_e32 v182, v25
	v_cmp_gt_i64_e64 s[0:1], 0, v[24:25]
	v_lshlrev_b32_e32 v25, 25, v18
	v_not_b32_e32 v183, v25
	v_cmp_gt_i64_e64 s[2:3], 0, v[24:25]
	v_lshlrev_b32_e32 v25, 24, v18
	v_lshlrev_b32_e32 v16, 3, v16
	buffer_store_dword v16, off, s[96:99], 0 offset:84 ; 4-byte Folded Spill
	v_not_b32_e32 v16, v25
	v_cmp_gt_i64_e64 s[4:5], 0, v[24:25]
	v_lshlrev_b32_e32 v25, 30, v19
	v_ashrrev_i32_e32 v67, 31, v11
	v_not_b32_e32 v11, v25
	v_cmp_gt_i64_e64 s[68:69], 0, v[24:25]
	v_lshlrev_b32_e32 v25, 29, v19
	v_lshlrev_b32_e32 v18, 3, v18
	v_ashrrev_i32_e32 v68, 31, v17
	v_not_b32_e32 v17, v25
	v_cmp_gt_i64_e64 s[8:9], 0, v[24:25]
	v_lshlrev_b32_e32 v25, 28, v19
	buffer_store_dword v18, off, s[96:99], 0 offset:88 ; 4-byte Folded Spill
	v_not_b32_e32 v18, v25
	v_cmp_gt_i64_e64 s[10:11], 0, v[24:25]
	v_lshlrev_b32_e32 v25, 27, v19
	v_not_b32_e32 v184, v25
	v_cmp_gt_i64_e64 s[12:13], 0, v[24:25]
	v_lshlrev_b32_e32 v25, 26, v19
	;; [unrolled: 3-line block ×10, first 2 shown]
	v_ashrrev_i32_e32 v66, 31, v5
	v_not_b32_e32 v193, v25
	v_cmp_gt_i64_e64 s[30:31], 0, v[24:25]
	v_lshlrev_b32_e32 v25, 24, v21
	v_lshlrev_b32_e32 v5, 3, v19
	buffer_store_dword v5, off, s[96:99], 0 offset:92 ; 4-byte Folded Spill
	v_not_b32_e32 v194, v25
	v_lshlrev_b32_e32 v5, 3, v21
	v_ashrrev_i32_e32 v52, 31, v52
	v_ashrrev_i32_e32 v53, 31, v53
	;; [unrolled: 1-line block ×16, first 2 shown]
	buffer_store_dword v5, off, s[96:99], 0 offset:96 ; 4-byte Folded Spill
	v_ashrrev_i32_e32 v90, 31, v90
	v_ashrrev_i32_e32 v91, 31, v2
	;; [unrolled: 1-line block ×93, first 2 shown]
	v_cmp_gt_i64_e64 s[66:67], 0, v[24:25]
	v_lshlrev_b32_e32 v26, 3, v0
	v_mov_b32_e32 v59, v52
	v_mov_b32_e32 v60, v53
	v_mov_b32_e32 v61, v54
	v_mov_b32_e32 v62, v55
	v_mov_b32_e32 v63, v56
	v_mov_b32_e32 v64, v57
	v_mov_b32_e32 v65, v58
	v_mov_b32_e32 v78, v66
	v_mov_b32_e32 v79, v67
	v_mov_b32_e32 v80, v68
	v_mov_b32_e32 v81, v69
	v_mov_b32_e32 v82, v70
	v_mov_b32_e32 v83, v71
	v_mov_b32_e32 v84, v72
	v_mov_b32_e32 v85, v73
	v_mov_b32_e32 v86, v74
	v_mov_b32_e32 v87, v75
	v_mov_b32_e32 v88, v76
	v_mov_b32_e32 v89, v77
	v_mov_b32_e32 v183, v90
	v_mov_b32_e32 v184, v91
	v_mov_b32_e32 v185, v92
	v_mov_b32_e32 v186, v93
	v_mov_b32_e32 v187, v94
	v_mov_b32_e32 v188, v95
	v_mov_b32_e32 v189, v96
	v_mov_b32_e32 v190, v97
	v_mov_b32_e32 v191, v98
	v_mov_b32_e32 v192, v99
	v_mov_b32_e32 v193, v100
	v_mov_b32_e32 v194, v101
	v_mov_b32_e32 v195, v102
	v_mov_b32_e32 v196, v103
	v_mov_b32_e32 v197, v104
	v_mov_b32_e32 v198, v105
	v_mov_b32_e32 v199, v106
	v_mov_b32_e32 v200, v107
	v_mov_b32_e32 v201, v108
	v_mov_b32_e32 v202, v109
	v_mov_b32_e32 v203, v110
	v_mov_b32_e32 v204, v111
	v_mov_b32_e32 v205, v112
	v_mov_b32_e32 v206, v113
	v_mov_b32_e32 v207, v114
	v_mov_b32_e32 v208, v115
	v_mov_b32_e32 v209, v116
	v_mov_b32_e32 v210, v117
	v_mov_b32_e32 v211, v118
	v_mov_b32_e32 v212, v119
	v_mov_b32_e32 v213, v120
	v_mov_b32_e32 v214, v121
	v_mov_b32_e32 v215, v122
	v_mov_b32_e32 v216, v123
	v_mov_b32_e32 v217, v124
	v_mov_b32_e32 v218, v125
	v_mov_b32_e32 v219, v126
	v_mov_b32_e32 v220, v127
	v_mov_b32_e32 v221, v128
	v_mov_b32_e32 v222, v129
	v_mov_b32_e32 v223, v130
	v_mov_b32_e32 v224, v131
	v_mov_b32_e32 v225, v132
	v_mov_b32_e32 v226, v133
	v_mov_b32_e32 v227, v134
	v_mov_b32_e32 v228, v135
	v_mov_b32_e32 v229, v136
	v_mov_b32_e32 v230, v137
	v_mov_b32_e32 v231, v138
	v_mov_b32_e32 v232, v139
	v_mov_b32_e32 v233, v140
	v_mov_b32_e32 v234, v141
	v_mov_b32_e32 v235, v142
	v_cmp_eq_u32_e64 s[34:35], 1, v163
	v_mov_b32_e32 v236, v143
	v_cmp_eq_u32_e64 s[36:37], 1, v162
	v_mov_b32_e32 v237, v144
	v_cmp_eq_u32_e64 s[38:39], 1, v161
	v_mov_b32_e32 v238, v145
	v_cmp_eq_u32_e64 s[40:41], 1, v160
	v_mov_b32_e32 v239, v146
	v_cmp_eq_u32_e64 s[42:43], 1, v165
	v_mov_b32_e32 v240, v147
	v_cmp_eq_u32_e64 s[44:45], 1, v164
	v_mov_b32_e32 v241, v148
	v_cmp_eq_u32_e64 s[46:47], 1, v170
	v_mov_b32_e32 v242, v149
	v_cmp_eq_u32_e64 s[48:49], 1, v171
	v_mov_b32_e32 v243, v150
	v_cmp_eq_u32_e64 s[50:51], 1, v172
	v_mov_b32_e32 v244, v151
	v_cmp_eq_u32_e64 s[52:53], 1, v173
	v_mov_b32_e32 v245, v152
	v_cmp_eq_u32_e64 s[54:55], 1, v169
	v_mov_b32_e32 v246, v153
	v_cmp_eq_u32_e64 s[56:57], 1, v168
	v_mov_b32_e32 v247, v154
	v_cmp_eq_u32_e64 s[58:59], 1, v167
	v_mov_b32_e32 v248, v155
	v_cmp_eq_u32_e64 s[60:61], 1, v166
	v_mov_b32_e32 v249, v156
	v_cmp_eq_u32_e64 s[62:63], 1, v175
	v_mov_b32_e32 v250, v157
	v_cmp_eq_u32_e64 s[64:65], 1, v174
	v_mov_b32_e32 v251, v158
	v_mov_b32_e32 v0, v252
	v_mov_b32_e32 v252, v159
	;; [unrolled: 1-line block ×25, first 2 shown]
	buffer_store_dword v26, off, s[96:99], 0 offset:36 ; 4-byte Folded Spill
	s_branch .LBB23_2
.LBB23_1:                               ;   in Loop: Header=BB23_2 Depth=1
	s_or_b64 exec, exec, s[6:7]
	s_add_i32 s33, s33, -1
	s_cmp_eq_u32 s33, 0
	s_waitcnt lgkmcnt(0)
	s_barrier
	s_cbranch_scc1 .LBB23_36
.LBB23_2:                               ; =>This Inner Loop Header: Depth=1
	s_and_saveexec_b64 s[6:7], s[70:71]
	s_cbranch_execz .LBB23_4
; %bb.3:                                ;   in Loop: Header=BB23_2 Depth=1
	buffer_load_dword v22, off, s[96:99], 0 offset:36 ; 4-byte Folded Reload
	v_mov_b32_e32 v25, v24
	s_waitcnt vmcnt(0)
	ds_write_b64 v22, v[24:25]
.LBB23_4:                               ;   in Loop: Header=BB23_2 Depth=1
	s_or_b64 exec, exec, s[6:7]
	v_cndmask_b32_e64 v22, 0, 1, s[34:35]
	s_waitcnt vmcnt(0) lgkmcnt(0)
	s_barrier
	v_cmp_ne_u32_e32 vcc, 0, v22
	buffer_load_dword v22, off, s[96:99], 0 offset:4 ; 4-byte Folded Reload
	buffer_load_dword v23, off, s[96:99], 0 ; 4-byte Folded Reload
	v_readlane_b32 s6, v253, 5
	v_readlane_b32 s7, v253, 6
	v_cndmask_b32_e64 v25, 0, 1, s[6:7]
	v_readlane_b32 s6, v253, 7
	v_readlane_b32 s7, v253, 8
	s_waitcnt vmcnt(1)
	v_xor_b32_e32 v22, vcc_hi, v22
	s_waitcnt vmcnt(0)
	v_xor_b32_e32 v23, vcc_lo, v23
	v_cmp_ne_u32_e32 vcc, 0, v25
	v_and_b32_e32 v22, exec_hi, v22
	v_xor_b32_e32 v25, vcc_hi, v59
	v_and_b32_e32 v22, v22, v25
	v_cndmask_b32_e64 v25, 0, 1, s[6:7]
	v_xor_b32_e32 v26, vcc_lo, v52
	v_cmp_ne_u32_e32 vcc, 0, v25
	v_readlane_b32 s6, v253, 9
	v_xor_b32_e32 v25, vcc_hi, v60
	v_readlane_b32 s7, v253, 10
	v_and_b32_e32 v23, exec_lo, v23
	v_and_b32_e32 v22, v22, v25
	v_cndmask_b32_e64 v25, 0, 1, s[6:7]
	v_and_b32_e32 v23, v23, v26
	v_xor_b32_e32 v26, vcc_lo, v53
	v_cmp_ne_u32_e32 vcc, 0, v25
	v_readlane_b32 s6, v253, 11
	v_xor_b32_e32 v25, vcc_hi, v61
	v_readlane_b32 s7, v253, 12
	v_and_b32_e32 v22, v22, v25
	v_cndmask_b32_e64 v25, 0, 1, s[6:7]
	v_and_b32_e32 v23, v23, v26
	v_xor_b32_e32 v26, vcc_lo, v54
	v_cmp_ne_u32_e32 vcc, 0, v25
	v_readlane_b32 s6, v253, 13
	v_xor_b32_e32 v25, vcc_hi, v62
	v_readlane_b32 s7, v253, 14
	;; [unrolled: 8-line block ×4, first 2 shown]
	v_and_b32_e32 v22, v22, v25
	v_cndmask_b32_e64 v25, 0, 1, s[6:7]
	v_and_b32_e32 v23, v23, v26
	v_xor_b32_e32 v26, vcc_lo, v57
	v_cmp_ne_u32_e32 vcc, 0, v25
	v_and_b32_e32 v23, v23, v26
	v_xor_b32_e32 v25, vcc_hi, v65
	v_xor_b32_e32 v26, vcc_lo, v58
	v_and_b32_e32 v25, v22, v25
	v_and_b32_e32 v22, v23, v26
	v_mbcnt_lo_u32_b32 v23, v22, 0
	v_mbcnt_hi_u32_b32 v23, v25, v23
	v_cmp_eq_u32_e32 vcc, 0, v23
	s_and_saveexec_b64 s[6:7], vcc
; %bb.5:                                ;   in Loop: Header=BB23_2 Depth=1
	v_bcnt_u32_b32 v22, v22, 0
	v_bcnt_u32_b32 v22, v25, v22
	v_mov_b32_e32 v23, v24
	ds_add_u64 v0, v[22:23]
; %bb.6:                                ;   in Loop: Header=BB23_2 Depth=1
	s_or_b64 exec, exec, s[6:7]
	v_cndmask_b32_e64 v22, 0, 1, s[36:37]
	v_cmp_ne_u32_e32 vcc, 0, v22
	buffer_load_dword v22, off, s[96:99], 0 offset:12 ; 4-byte Folded Reload
	buffer_load_dword v23, off, s[96:99], 0 offset:8 ; 4-byte Folded Reload
	v_readlane_b32 s6, v253, 19
	v_readlane_b32 s7, v253, 20
	v_cndmask_b32_e64 v25, 0, 1, s[6:7]
	v_readlane_b32 s6, v253, 21
	v_readlane_b32 s7, v253, 22
	s_waitcnt vmcnt(1)
	v_xor_b32_e32 v22, vcc_hi, v22
	s_waitcnt vmcnt(0)
	v_xor_b32_e32 v23, vcc_lo, v23
	v_cmp_ne_u32_e32 vcc, 0, v25
	v_and_b32_e32 v22, exec_hi, v22
	v_xor_b32_e32 v25, vcc_hi, v78
	v_and_b32_e32 v22, v22, v25
	v_cndmask_b32_e64 v25, 0, 1, s[6:7]
	v_xor_b32_e32 v26, vcc_lo, v66
	v_cmp_ne_u32_e32 vcc, 0, v25
	v_readlane_b32 s6, v253, 23
	v_xor_b32_e32 v25, vcc_hi, v79
	v_readlane_b32 s7, v253, 24
	v_and_b32_e32 v23, exec_lo, v23
	v_and_b32_e32 v22, v22, v25
	v_cndmask_b32_e64 v25, 0, 1, s[6:7]
	v_and_b32_e32 v23, v23, v26
	v_xor_b32_e32 v26, vcc_lo, v67
	v_cmp_ne_u32_e32 vcc, 0, v25
	v_readlane_b32 s6, v253, 25
	v_xor_b32_e32 v25, vcc_hi, v80
	v_readlane_b32 s7, v253, 26
	v_and_b32_e32 v22, v22, v25
	v_cndmask_b32_e64 v25, 0, 1, s[6:7]
	v_and_b32_e32 v23, v23, v26
	v_xor_b32_e32 v26, vcc_lo, v68
	v_cmp_ne_u32_e32 vcc, 0, v25
	v_readlane_b32 s6, v253, 27
	v_xor_b32_e32 v25, vcc_hi, v81
	v_readlane_b32 s7, v253, 28
	;; [unrolled: 8-line block ×4, first 2 shown]
	v_and_b32_e32 v22, v22, v25
	v_cndmask_b32_e64 v25, 0, 1, s[6:7]
	v_and_b32_e32 v23, v23, v26
	v_xor_b32_e32 v26, vcc_lo, v71
	v_cmp_ne_u32_e32 vcc, 0, v25
	v_and_b32_e32 v23, v23, v26
	v_xor_b32_e32 v25, vcc_hi, v84
	v_xor_b32_e32 v26, vcc_lo, v72
	v_and_b32_e32 v25, v22, v25
	v_and_b32_e32 v22, v23, v26
	v_mbcnt_lo_u32_b32 v23, v22, 0
	v_mbcnt_hi_u32_b32 v23, v25, v23
	v_cmp_eq_u32_e32 vcc, 0, v23
	s_and_saveexec_b64 s[6:7], vcc
	s_cbranch_execz .LBB23_8
; %bb.7:                                ;   in Loop: Header=BB23_2 Depth=1
	v_bcnt_u32_b32 v22, v22, 0
	v_bcnt_u32_b32 v22, v25, v22
	buffer_load_dword v25, off, s[96:99], 0 offset:40 ; 4-byte Folded Reload
	v_mov_b32_e32 v23, v24
	s_waitcnt vmcnt(0)
	ds_add_u64 v25, v[22:23]
.LBB23_8:                               ;   in Loop: Header=BB23_2 Depth=1
	s_or_b64 exec, exec, s[6:7]
	v_cndmask_b32_e64 v22, 0, 1, s[38:39]
	v_cmp_ne_u32_e32 vcc, 0, v22
	buffer_load_dword v22, off, s[96:99], 0 offset:20 ; 4-byte Folded Reload
	buffer_load_dword v23, off, s[96:99], 0 offset:16 ; 4-byte Folded Reload
	v_readlane_b32 s6, v253, 33
	v_readlane_b32 s7, v253, 34
	v_cndmask_b32_e64 v25, 0, 1, s[6:7]
	v_readlane_b32 s6, v253, 35
	v_readlane_b32 s7, v253, 36
	s_waitcnt vmcnt(1)
	v_xor_b32_e32 v22, vcc_hi, v22
	s_waitcnt vmcnt(0)
	v_xor_b32_e32 v23, vcc_lo, v23
	v_cmp_ne_u32_e32 vcc, 0, v25
	v_and_b32_e32 v22, exec_hi, v22
	v_xor_b32_e32 v25, vcc_hi, v85
	v_and_b32_e32 v22, v22, v25
	v_cndmask_b32_e64 v25, 0, 1, s[6:7]
	v_xor_b32_e32 v26, vcc_lo, v73
	v_cmp_ne_u32_e32 vcc, 0, v25
	v_readlane_b32 s6, v253, 37
	v_xor_b32_e32 v25, vcc_hi, v86
	v_readlane_b32 s7, v253, 38
	v_and_b32_e32 v23, exec_lo, v23
	v_and_b32_e32 v22, v22, v25
	v_cndmask_b32_e64 v25, 0, 1, s[6:7]
	v_and_b32_e32 v23, v23, v26
	v_xor_b32_e32 v26, vcc_lo, v74
	v_cmp_ne_u32_e32 vcc, 0, v25
	v_readlane_b32 s6, v253, 39
	v_xor_b32_e32 v25, vcc_hi, v87
	v_readlane_b32 s7, v253, 40
	v_and_b32_e32 v22, v22, v25
	v_cndmask_b32_e64 v25, 0, 1, s[6:7]
	v_and_b32_e32 v23, v23, v26
	v_xor_b32_e32 v26, vcc_lo, v75
	v_cmp_ne_u32_e32 vcc, 0, v25
	v_readlane_b32 s6, v253, 41
	v_xor_b32_e32 v25, vcc_hi, v88
	v_readlane_b32 s7, v253, 42
	;; [unrolled: 8-line block ×4, first 2 shown]
	v_and_b32_e32 v22, v22, v25
	v_cndmask_b32_e64 v25, 0, 1, s[6:7]
	v_and_b32_e32 v23, v23, v26
	v_xor_b32_e32 v26, vcc_lo, v90
	v_cmp_ne_u32_e32 vcc, 0, v25
	v_and_b32_e32 v23, v23, v26
	v_xor_b32_e32 v25, vcc_hi, v184
	v_xor_b32_e32 v26, vcc_lo, v91
	v_and_b32_e32 v25, v22, v25
	v_and_b32_e32 v22, v23, v26
	v_mbcnt_lo_u32_b32 v23, v22, 0
	v_mbcnt_hi_u32_b32 v23, v25, v23
	v_cmp_eq_u32_e32 vcc, 0, v23
	s_and_saveexec_b64 s[6:7], vcc
	s_cbranch_execz .LBB23_10
; %bb.9:                                ;   in Loop: Header=BB23_2 Depth=1
	v_bcnt_u32_b32 v22, v22, 0
	v_bcnt_u32_b32 v22, v25, v22
	buffer_load_dword v25, off, s[96:99], 0 offset:44 ; 4-byte Folded Reload
	v_mov_b32_e32 v23, v24
	s_waitcnt vmcnt(0)
	ds_add_u64 v25, v[22:23]
.LBB23_10:                              ;   in Loop: Header=BB23_2 Depth=1
	s_or_b64 exec, exec, s[6:7]
	v_cndmask_b32_e64 v22, 0, 1, s[40:41]
	v_cmp_ne_u32_e32 vcc, 0, v22
	buffer_load_dword v22, off, s[96:99], 0 offset:28 ; 4-byte Folded Reload
	buffer_load_dword v23, off, s[96:99], 0 offset:24 ; 4-byte Folded Reload
	v_readlane_b32 s6, v253, 47
	v_readlane_b32 s7, v253, 48
	v_cndmask_b32_e64 v25, 0, 1, s[6:7]
	v_readlane_b32 s6, v253, 49
	v_readlane_b32 s7, v253, 50
	s_waitcnt vmcnt(1)
	v_xor_b32_e32 v22, vcc_hi, v22
	s_waitcnt vmcnt(0)
	v_xor_b32_e32 v23, vcc_lo, v23
	v_cmp_ne_u32_e32 vcc, 0, v25
	v_and_b32_e32 v22, exec_hi, v22
	v_xor_b32_e32 v25, vcc_hi, v185
	v_and_b32_e32 v22, v22, v25
	v_cndmask_b32_e64 v25, 0, 1, s[6:7]
	v_xor_b32_e32 v26, vcc_lo, v92
	v_cmp_ne_u32_e32 vcc, 0, v25
	v_readlane_b32 s6, v253, 51
	v_xor_b32_e32 v25, vcc_hi, v186
	v_readlane_b32 s7, v253, 52
	v_and_b32_e32 v23, exec_lo, v23
	v_and_b32_e32 v22, v22, v25
	v_cndmask_b32_e64 v25, 0, 1, s[6:7]
	v_and_b32_e32 v23, v23, v26
	v_xor_b32_e32 v26, vcc_lo, v93
	v_cmp_ne_u32_e32 vcc, 0, v25
	v_readlane_b32 s6, v253, 53
	v_xor_b32_e32 v25, vcc_hi, v187
	v_readlane_b32 s7, v253, 54
	v_and_b32_e32 v22, v22, v25
	v_cndmask_b32_e64 v25, 0, 1, s[6:7]
	v_and_b32_e32 v23, v23, v26
	v_xor_b32_e32 v26, vcc_lo, v94
	v_cmp_ne_u32_e32 vcc, 0, v25
	v_readlane_b32 s6, v253, 55
	v_xor_b32_e32 v25, vcc_hi, v188
	v_readlane_b32 s7, v253, 56
	;; [unrolled: 8-line block ×4, first 2 shown]
	v_and_b32_e32 v22, v22, v25
	v_cndmask_b32_e64 v25, 0, 1, s[6:7]
	v_and_b32_e32 v23, v23, v26
	v_xor_b32_e32 v26, vcc_lo, v97
	v_cmp_ne_u32_e32 vcc, 0, v25
	v_and_b32_e32 v23, v23, v26
	v_xor_b32_e32 v25, vcc_hi, v191
	v_xor_b32_e32 v26, vcc_lo, v98
	v_and_b32_e32 v25, v22, v25
	v_and_b32_e32 v22, v23, v26
	v_mbcnt_lo_u32_b32 v23, v22, 0
	v_mbcnt_hi_u32_b32 v23, v25, v23
	v_cmp_eq_u32_e32 vcc, 0, v23
	s_and_saveexec_b64 s[6:7], vcc
	s_cbranch_execz .LBB23_12
; %bb.11:                               ;   in Loop: Header=BB23_2 Depth=1
	v_bcnt_u32_b32 v22, v22, 0
	v_bcnt_u32_b32 v22, v25, v22
	buffer_load_dword v25, off, s[96:99], 0 offset:52 ; 4-byte Folded Reload
	v_mov_b32_e32 v23, v24
	s_waitcnt vmcnt(0)
	ds_add_u64 v25, v[22:23]
.LBB23_12:                              ;   in Loop: Header=BB23_2 Depth=1
	s_or_b64 exec, exec, s[6:7]
	buffer_load_dword v23, off, s[96:99], 0 offset:32 ; 4-byte Folded Reload
	v_readlane_b32 s6, v253, 61
	v_cndmask_b32_e64 v22, 0, 1, s[42:43]
	v_readlane_b32 s7, v253, 62
	v_cmp_ne_u32_e32 vcc, 0, v22
	v_cndmask_b32_e64 v25, 0, 1, s[6:7]
	v_xor_b32_e32 v22, vcc_hi, v28
	v_readlane_b32 s6, v253, 63
	v_and_b32_e32 v22, exec_hi, v22
	v_readlane_b32 s7, v254, 0
	s_waitcnt vmcnt(0)
	v_xor_b32_e32 v23, vcc_lo, v23
	v_cmp_ne_u32_e32 vcc, 0, v25
	v_xor_b32_e32 v25, vcc_hi, v192
	v_and_b32_e32 v22, v22, v25
	v_cndmask_b32_e64 v25, 0, 1, s[6:7]
	v_xor_b32_e32 v26, vcc_lo, v99
	v_cmp_ne_u32_e32 vcc, 0, v25
	v_readlane_b32 s6, v254, 1
	v_xor_b32_e32 v25, vcc_hi, v193
	v_readlane_b32 s7, v254, 2
	v_and_b32_e32 v23, exec_lo, v23
	v_and_b32_e32 v22, v22, v25
	v_cndmask_b32_e64 v25, 0, 1, s[6:7]
	v_and_b32_e32 v23, v23, v26
	v_xor_b32_e32 v26, vcc_lo, v100
	v_cmp_ne_u32_e32 vcc, 0, v25
	v_readlane_b32 s6, v254, 3
	v_xor_b32_e32 v25, vcc_hi, v194
	v_readlane_b32 s7, v254, 4
	v_and_b32_e32 v22, v22, v25
	v_cndmask_b32_e64 v25, 0, 1, s[6:7]
	v_and_b32_e32 v23, v23, v26
	v_xor_b32_e32 v26, vcc_lo, v101
	v_cmp_ne_u32_e32 vcc, 0, v25
	v_readlane_b32 s6, v254, 5
	v_xor_b32_e32 v25, vcc_hi, v195
	v_readlane_b32 s7, v254, 6
	;; [unrolled: 8-line block ×4, first 2 shown]
	v_and_b32_e32 v22, v22, v25
	v_cndmask_b32_e64 v25, 0, 1, s[6:7]
	v_and_b32_e32 v23, v23, v26
	v_xor_b32_e32 v26, vcc_lo, v104
	v_cmp_ne_u32_e32 vcc, 0, v25
	v_and_b32_e32 v23, v23, v26
	v_xor_b32_e32 v25, vcc_hi, v198
	v_xor_b32_e32 v26, vcc_lo, v105
	v_and_b32_e32 v25, v22, v25
	v_and_b32_e32 v22, v23, v26
	v_mbcnt_lo_u32_b32 v23, v22, 0
	v_mbcnt_hi_u32_b32 v23, v25, v23
	v_cmp_eq_u32_e32 vcc, 0, v23
	s_and_saveexec_b64 s[6:7], vcc
	s_cbranch_execz .LBB23_14
; %bb.13:                               ;   in Loop: Header=BB23_2 Depth=1
	v_bcnt_u32_b32 v22, v22, 0
	v_bcnt_u32_b32 v22, v25, v22
	buffer_load_dword v25, off, s[96:99], 0 offset:48 ; 4-byte Folded Reload
	v_mov_b32_e32 v23, v24
	s_waitcnt vmcnt(0)
	ds_add_u64 v25, v[22:23]
.LBB23_14:                              ;   in Loop: Header=BB23_2 Depth=1
	s_or_b64 exec, exec, s[6:7]
	v_readlane_b32 s6, v254, 11
	v_cndmask_b32_e64 v22, 0, 1, s[44:45]
	v_readlane_b32 s7, v254, 12
	v_cmp_ne_u32_e32 vcc, 0, v22
	v_cndmask_b32_e64 v25, 0, 1, s[6:7]
	v_xor_b32_e32 v22, vcc_hi, v30
	v_xor_b32_e32 v23, vcc_lo, v29
	v_cmp_ne_u32_e32 vcc, 0, v25
	v_readlane_b32 s6, v254, 13
	v_and_b32_e32 v22, exec_hi, v22
	v_xor_b32_e32 v25, vcc_hi, v199
	v_readlane_b32 s7, v254, 14
	v_and_b32_e32 v22, v22, v25
	v_cndmask_b32_e64 v25, 0, 1, s[6:7]
	v_xor_b32_e32 v26, vcc_lo, v106
	v_cmp_ne_u32_e32 vcc, 0, v25
	v_readlane_b32 s6, v254, 15
	v_xor_b32_e32 v25, vcc_hi, v200
	v_readlane_b32 s7, v254, 16
	v_and_b32_e32 v23, exec_lo, v23
	v_and_b32_e32 v22, v22, v25
	v_cndmask_b32_e64 v25, 0, 1, s[6:7]
	v_and_b32_e32 v23, v23, v26
	v_xor_b32_e32 v26, vcc_lo, v107
	v_cmp_ne_u32_e32 vcc, 0, v25
	v_readlane_b32 s6, v254, 17
	v_xor_b32_e32 v25, vcc_hi, v201
	v_readlane_b32 s7, v254, 18
	v_and_b32_e32 v22, v22, v25
	v_cndmask_b32_e64 v25, 0, 1, s[6:7]
	v_and_b32_e32 v23, v23, v26
	v_xor_b32_e32 v26, vcc_lo, v108
	v_cmp_ne_u32_e32 vcc, 0, v25
	v_readlane_b32 s6, v254, 19
	v_xor_b32_e32 v25, vcc_hi, v202
	v_readlane_b32 s7, v254, 20
	;; [unrolled: 8-line block ×4, first 2 shown]
	v_and_b32_e32 v22, v22, v25
	v_cndmask_b32_e64 v25, 0, 1, s[6:7]
	v_and_b32_e32 v23, v23, v26
	v_xor_b32_e32 v26, vcc_lo, v111
	v_cmp_ne_u32_e32 vcc, 0, v25
	v_and_b32_e32 v23, v23, v26
	v_xor_b32_e32 v25, vcc_hi, v205
	v_xor_b32_e32 v26, vcc_lo, v112
	v_and_b32_e32 v25, v22, v25
	v_and_b32_e32 v22, v23, v26
	v_mbcnt_lo_u32_b32 v23, v22, 0
	v_mbcnt_hi_u32_b32 v23, v25, v23
	v_cmp_eq_u32_e32 vcc, 0, v23
	s_and_saveexec_b64 s[6:7], vcc
	s_cbranch_execz .LBB23_16
; %bb.15:                               ;   in Loop: Header=BB23_2 Depth=1
	v_bcnt_u32_b32 v22, v22, 0
	v_bcnt_u32_b32 v22, v25, v22
	buffer_load_dword v25, off, s[96:99], 0 offset:56 ; 4-byte Folded Reload
	v_mov_b32_e32 v23, v24
	s_waitcnt vmcnt(0)
	ds_add_u64 v25, v[22:23]
.LBB23_16:                              ;   in Loop: Header=BB23_2 Depth=1
	s_or_b64 exec, exec, s[6:7]
	v_readlane_b32 s6, v254, 25
	v_cndmask_b32_e64 v22, 0, 1, s[46:47]
	v_readlane_b32 s7, v254, 26
	v_cmp_ne_u32_e32 vcc, 0, v22
	v_cndmask_b32_e64 v25, 0, 1, s[6:7]
	v_xor_b32_e32 v22, vcc_hi, v32
	v_xor_b32_e32 v23, vcc_lo, v31
	v_cmp_ne_u32_e32 vcc, 0, v25
	v_readlane_b32 s6, v254, 27
	v_and_b32_e32 v22, exec_hi, v22
	v_xor_b32_e32 v25, vcc_hi, v206
	v_readlane_b32 s7, v254, 28
	v_and_b32_e32 v22, v22, v25
	v_cndmask_b32_e64 v25, 0, 1, s[6:7]
	v_xor_b32_e32 v26, vcc_lo, v113
	v_cmp_ne_u32_e32 vcc, 0, v25
	v_readlane_b32 s6, v254, 29
	v_xor_b32_e32 v25, vcc_hi, v207
	v_readlane_b32 s7, v254, 30
	v_and_b32_e32 v23, exec_lo, v23
	v_and_b32_e32 v22, v22, v25
	v_cndmask_b32_e64 v25, 0, 1, s[6:7]
	v_and_b32_e32 v23, v23, v26
	v_xor_b32_e32 v26, vcc_lo, v114
	v_cmp_ne_u32_e32 vcc, 0, v25
	v_readlane_b32 s6, v254, 31
	v_xor_b32_e32 v25, vcc_hi, v208
	v_readlane_b32 s7, v254, 32
	v_and_b32_e32 v22, v22, v25
	v_cndmask_b32_e64 v25, 0, 1, s[6:7]
	v_and_b32_e32 v23, v23, v26
	v_xor_b32_e32 v26, vcc_lo, v115
	v_cmp_ne_u32_e32 vcc, 0, v25
	v_readlane_b32 s6, v254, 33
	v_xor_b32_e32 v25, vcc_hi, v209
	v_readlane_b32 s7, v254, 34
	;; [unrolled: 8-line block ×4, first 2 shown]
	v_and_b32_e32 v22, v22, v25
	v_cndmask_b32_e64 v25, 0, 1, s[6:7]
	v_and_b32_e32 v23, v23, v26
	v_xor_b32_e32 v26, vcc_lo, v118
	v_cmp_ne_u32_e32 vcc, 0, v25
	v_and_b32_e32 v23, v23, v26
	v_xor_b32_e32 v25, vcc_hi, v212
	v_xor_b32_e32 v26, vcc_lo, v119
	v_and_b32_e32 v25, v22, v25
	v_and_b32_e32 v22, v23, v26
	v_mbcnt_lo_u32_b32 v23, v22, 0
	v_mbcnt_hi_u32_b32 v23, v25, v23
	v_cmp_eq_u32_e32 vcc, 0, v23
	s_and_saveexec_b64 s[6:7], vcc
	s_cbranch_execz .LBB23_18
; %bb.17:                               ;   in Loop: Header=BB23_2 Depth=1
	v_bcnt_u32_b32 v22, v22, 0
	v_bcnt_u32_b32 v22, v25, v22
	buffer_load_dword v25, off, s[96:99], 0 offset:60 ; 4-byte Folded Reload
	v_mov_b32_e32 v23, v24
	s_waitcnt vmcnt(0)
	ds_add_u64 v25, v[22:23]
.LBB23_18:                              ;   in Loop: Header=BB23_2 Depth=1
	s_or_b64 exec, exec, s[6:7]
	v_readlane_b32 s6, v254, 39
	v_cndmask_b32_e64 v22, 0, 1, s[48:49]
	v_readlane_b32 s7, v254, 40
	v_cmp_ne_u32_e32 vcc, 0, v22
	v_cndmask_b32_e64 v25, 0, 1, s[6:7]
	v_xor_b32_e32 v22, vcc_hi, v34
	v_xor_b32_e32 v23, vcc_lo, v33
	v_cmp_ne_u32_e32 vcc, 0, v25
	v_readlane_b32 s6, v254, 41
	v_and_b32_e32 v22, exec_hi, v22
	v_xor_b32_e32 v25, vcc_hi, v213
	v_readlane_b32 s7, v254, 42
	v_and_b32_e32 v22, v22, v25
	v_cndmask_b32_e64 v25, 0, 1, s[6:7]
	v_xor_b32_e32 v26, vcc_lo, v120
	v_cmp_ne_u32_e32 vcc, 0, v25
	v_readlane_b32 s6, v254, 43
	v_xor_b32_e32 v25, vcc_hi, v214
	v_readlane_b32 s7, v254, 44
	v_and_b32_e32 v23, exec_lo, v23
	v_and_b32_e32 v22, v22, v25
	v_cndmask_b32_e64 v25, 0, 1, s[6:7]
	v_and_b32_e32 v23, v23, v26
	v_xor_b32_e32 v26, vcc_lo, v121
	v_cmp_ne_u32_e32 vcc, 0, v25
	v_readlane_b32 s6, v254, 45
	v_xor_b32_e32 v25, vcc_hi, v215
	v_readlane_b32 s7, v254, 46
	v_and_b32_e32 v22, v22, v25
	v_cndmask_b32_e64 v25, 0, 1, s[6:7]
	v_and_b32_e32 v23, v23, v26
	v_xor_b32_e32 v26, vcc_lo, v122
	v_cmp_ne_u32_e32 vcc, 0, v25
	v_readlane_b32 s6, v254, 47
	v_xor_b32_e32 v25, vcc_hi, v216
	v_readlane_b32 s7, v254, 48
	;; [unrolled: 8-line block ×4, first 2 shown]
	v_and_b32_e32 v22, v22, v25
	v_cndmask_b32_e64 v25, 0, 1, s[6:7]
	v_and_b32_e32 v23, v23, v26
	v_xor_b32_e32 v26, vcc_lo, v125
	v_cmp_ne_u32_e32 vcc, 0, v25
	v_and_b32_e32 v23, v23, v26
	v_xor_b32_e32 v25, vcc_hi, v219
	v_xor_b32_e32 v26, vcc_lo, v126
	v_and_b32_e32 v25, v22, v25
	v_and_b32_e32 v22, v23, v26
	v_mbcnt_lo_u32_b32 v23, v22, 0
	v_mbcnt_hi_u32_b32 v23, v25, v23
	v_cmp_eq_u32_e32 vcc, 0, v23
	s_and_saveexec_b64 s[6:7], vcc
	s_cbranch_execz .LBB23_20
; %bb.19:                               ;   in Loop: Header=BB23_2 Depth=1
	v_bcnt_u32_b32 v22, v22, 0
	v_bcnt_u32_b32 v22, v25, v22
	buffer_load_dword v25, off, s[96:99], 0 offset:64 ; 4-byte Folded Reload
	v_mov_b32_e32 v23, v24
	s_waitcnt vmcnt(0)
	ds_add_u64 v25, v[22:23]
.LBB23_20:                              ;   in Loop: Header=BB23_2 Depth=1
	s_or_b64 exec, exec, s[6:7]
	v_readlane_b32 s6, v254, 53
	v_cndmask_b32_e64 v22, 0, 1, s[50:51]
	v_readlane_b32 s7, v254, 54
	v_cmp_ne_u32_e32 vcc, 0, v22
	v_cndmask_b32_e64 v25, 0, 1, s[6:7]
	v_xor_b32_e32 v22, vcc_hi, v36
	v_xor_b32_e32 v23, vcc_lo, v35
	v_cmp_ne_u32_e32 vcc, 0, v25
	v_readlane_b32 s6, v254, 55
	v_and_b32_e32 v22, exec_hi, v22
	v_xor_b32_e32 v25, vcc_hi, v220
	v_readlane_b32 s7, v254, 56
	v_and_b32_e32 v22, v22, v25
	v_cndmask_b32_e64 v25, 0, 1, s[6:7]
	v_xor_b32_e32 v26, vcc_lo, v127
	v_cmp_ne_u32_e32 vcc, 0, v25
	v_readlane_b32 s6, v254, 57
	v_xor_b32_e32 v25, vcc_hi, v221
	v_readlane_b32 s7, v254, 58
	v_and_b32_e32 v23, exec_lo, v23
	v_and_b32_e32 v22, v22, v25
	v_cndmask_b32_e64 v25, 0, 1, s[6:7]
	v_and_b32_e32 v23, v23, v26
	v_xor_b32_e32 v26, vcc_lo, v128
	v_cmp_ne_u32_e32 vcc, 0, v25
	v_readlane_b32 s6, v254, 59
	v_xor_b32_e32 v25, vcc_hi, v222
	v_readlane_b32 s7, v254, 60
	v_and_b32_e32 v22, v22, v25
	v_cndmask_b32_e64 v25, 0, 1, s[6:7]
	v_and_b32_e32 v23, v23, v26
	v_xor_b32_e32 v26, vcc_lo, v129
	v_cmp_ne_u32_e32 vcc, 0, v25
	v_readlane_b32 s6, v254, 61
	v_xor_b32_e32 v25, vcc_hi, v223
	v_readlane_b32 s7, v254, 62
	;; [unrolled: 8-line block ×4, first 2 shown]
	v_and_b32_e32 v22, v22, v25
	v_cndmask_b32_e64 v25, 0, 1, s[6:7]
	v_and_b32_e32 v23, v23, v26
	v_xor_b32_e32 v26, vcc_lo, v132
	v_cmp_ne_u32_e32 vcc, 0, v25
	v_and_b32_e32 v23, v23, v26
	v_xor_b32_e32 v25, vcc_hi, v226
	v_xor_b32_e32 v26, vcc_lo, v133
	v_and_b32_e32 v25, v22, v25
	v_and_b32_e32 v22, v23, v26
	v_mbcnt_lo_u32_b32 v23, v22, 0
	v_mbcnt_hi_u32_b32 v23, v25, v23
	v_cmp_eq_u32_e32 vcc, 0, v23
	s_and_saveexec_b64 s[6:7], vcc
	s_cbranch_execz .LBB23_22
; %bb.21:                               ;   in Loop: Header=BB23_2 Depth=1
	v_bcnt_u32_b32 v22, v22, 0
	v_bcnt_u32_b32 v22, v25, v22
	buffer_load_dword v25, off, s[96:99], 0 offset:68 ; 4-byte Folded Reload
	v_mov_b32_e32 v23, v24
	s_waitcnt vmcnt(0)
	ds_add_u64 v25, v[22:23]
.LBB23_22:                              ;   in Loop: Header=BB23_2 Depth=1
	s_or_b64 exec, exec, s[6:7]
	v_readlane_b32 s6, v255, 3
	v_cndmask_b32_e64 v22, 0, 1, s[52:53]
	v_readlane_b32 s7, v255, 4
	v_cmp_ne_u32_e32 vcc, 0, v22
	v_cndmask_b32_e64 v25, 0, 1, s[6:7]
	v_xor_b32_e32 v22, vcc_hi, v38
	v_xor_b32_e32 v23, vcc_lo, v37
	v_cmp_ne_u32_e32 vcc, 0, v25
	v_readlane_b32 s6, v255, 5
	v_and_b32_e32 v22, exec_hi, v22
	v_xor_b32_e32 v25, vcc_hi, v227
	v_readlane_b32 s7, v255, 6
	v_and_b32_e32 v22, v22, v25
	v_cndmask_b32_e64 v25, 0, 1, s[6:7]
	v_xor_b32_e32 v26, vcc_lo, v134
	v_cmp_ne_u32_e32 vcc, 0, v25
	v_readlane_b32 s6, v255, 7
	v_xor_b32_e32 v25, vcc_hi, v228
	v_readlane_b32 s7, v255, 8
	v_and_b32_e32 v23, exec_lo, v23
	v_and_b32_e32 v22, v22, v25
	v_cndmask_b32_e64 v25, 0, 1, s[6:7]
	v_and_b32_e32 v23, v23, v26
	v_xor_b32_e32 v26, vcc_lo, v135
	v_cmp_ne_u32_e32 vcc, 0, v25
	v_readlane_b32 s6, v255, 9
	v_xor_b32_e32 v25, vcc_hi, v229
	v_readlane_b32 s7, v255, 10
	v_and_b32_e32 v22, v22, v25
	v_cndmask_b32_e64 v25, 0, 1, s[6:7]
	v_and_b32_e32 v23, v23, v26
	v_xor_b32_e32 v26, vcc_lo, v136
	v_cmp_ne_u32_e32 vcc, 0, v25
	v_readlane_b32 s6, v255, 11
	v_xor_b32_e32 v25, vcc_hi, v230
	v_readlane_b32 s7, v255, 12
	;; [unrolled: 8-line block ×4, first 2 shown]
	v_and_b32_e32 v22, v22, v25
	v_cndmask_b32_e64 v25, 0, 1, s[6:7]
	v_and_b32_e32 v23, v23, v26
	v_xor_b32_e32 v26, vcc_lo, v139
	v_cmp_ne_u32_e32 vcc, 0, v25
	v_and_b32_e32 v23, v23, v26
	v_xor_b32_e32 v25, vcc_hi, v233
	v_xor_b32_e32 v26, vcc_lo, v140
	v_and_b32_e32 v25, v22, v25
	v_and_b32_e32 v22, v23, v26
	v_mbcnt_lo_u32_b32 v23, v22, 0
	v_mbcnt_hi_u32_b32 v23, v25, v23
	v_cmp_eq_u32_e32 vcc, 0, v23
	s_and_saveexec_b64 s[6:7], vcc
	s_cbranch_execz .LBB23_24
; %bb.23:                               ;   in Loop: Header=BB23_2 Depth=1
	v_bcnt_u32_b32 v22, v22, 0
	v_bcnt_u32_b32 v22, v25, v22
	buffer_load_dword v25, off, s[96:99], 0 offset:72 ; 4-byte Folded Reload
	v_mov_b32_e32 v23, v24
	s_waitcnt vmcnt(0)
	ds_add_u64 v25, v[22:23]
.LBB23_24:                              ;   in Loop: Header=BB23_2 Depth=1
	s_or_b64 exec, exec, s[6:7]
	v_readlane_b32 s6, v255, 17
	v_cndmask_b32_e64 v22, 0, 1, s[54:55]
	v_readlane_b32 s7, v255, 18
	v_cmp_ne_u32_e32 vcc, 0, v22
	v_cndmask_b32_e64 v25, 0, 1, s[6:7]
	v_xor_b32_e32 v22, vcc_hi, v40
	v_xor_b32_e32 v23, vcc_lo, v39
	v_cmp_ne_u32_e32 vcc, 0, v25
	v_readlane_b32 s6, v255, 19
	v_and_b32_e32 v22, exec_hi, v22
	v_xor_b32_e32 v25, vcc_hi, v234
	v_readlane_b32 s7, v255, 20
	v_and_b32_e32 v22, v22, v25
	v_cndmask_b32_e64 v25, 0, 1, s[6:7]
	v_xor_b32_e32 v26, vcc_lo, v141
	v_cmp_ne_u32_e32 vcc, 0, v25
	v_readlane_b32 s6, v255, 21
	v_xor_b32_e32 v25, vcc_hi, v235
	v_readlane_b32 s7, v255, 22
	v_and_b32_e32 v23, exec_lo, v23
	v_and_b32_e32 v22, v22, v25
	v_cndmask_b32_e64 v25, 0, 1, s[6:7]
	v_and_b32_e32 v23, v23, v26
	v_xor_b32_e32 v26, vcc_lo, v142
	v_cmp_ne_u32_e32 vcc, 0, v25
	v_readlane_b32 s6, v255, 23
	v_xor_b32_e32 v25, vcc_hi, v236
	v_readlane_b32 s7, v255, 24
	v_and_b32_e32 v22, v22, v25
	v_cndmask_b32_e64 v25, 0, 1, s[6:7]
	v_and_b32_e32 v23, v23, v26
	v_xor_b32_e32 v26, vcc_lo, v143
	v_cmp_ne_u32_e32 vcc, 0, v25
	v_readlane_b32 s6, v255, 25
	v_xor_b32_e32 v25, vcc_hi, v237
	v_readlane_b32 s7, v255, 26
	;; [unrolled: 8-line block ×4, first 2 shown]
	v_and_b32_e32 v22, v22, v25
	v_cndmask_b32_e64 v25, 0, 1, s[6:7]
	v_and_b32_e32 v23, v23, v26
	v_xor_b32_e32 v26, vcc_lo, v146
	v_cmp_ne_u32_e32 vcc, 0, v25
	v_and_b32_e32 v23, v23, v26
	v_xor_b32_e32 v25, vcc_hi, v240
	v_xor_b32_e32 v26, vcc_lo, v147
	v_and_b32_e32 v25, v22, v25
	v_and_b32_e32 v22, v23, v26
	v_mbcnt_lo_u32_b32 v23, v22, 0
	v_mbcnt_hi_u32_b32 v23, v25, v23
	v_cmp_eq_u32_e32 vcc, 0, v23
	s_and_saveexec_b64 s[6:7], vcc
	s_cbranch_execz .LBB23_26
; %bb.25:                               ;   in Loop: Header=BB23_2 Depth=1
	v_bcnt_u32_b32 v22, v22, 0
	v_bcnt_u32_b32 v22, v25, v22
	buffer_load_dword v25, off, s[96:99], 0 offset:76 ; 4-byte Folded Reload
	v_mov_b32_e32 v23, v24
	s_waitcnt vmcnt(0)
	ds_add_u64 v25, v[22:23]
.LBB23_26:                              ;   in Loop: Header=BB23_2 Depth=1
	s_or_b64 exec, exec, s[6:7]
	v_readlane_b32 s6, v255, 31
	v_cndmask_b32_e64 v22, 0, 1, s[56:57]
	v_readlane_b32 s7, v255, 32
	v_cmp_ne_u32_e32 vcc, 0, v22
	v_cndmask_b32_e64 v25, 0, 1, s[6:7]
	v_xor_b32_e32 v22, vcc_hi, v42
	v_xor_b32_e32 v23, vcc_lo, v41
	v_cmp_ne_u32_e32 vcc, 0, v25
	v_readlane_b32 s6, v255, 33
	v_and_b32_e32 v22, exec_hi, v22
	v_xor_b32_e32 v25, vcc_hi, v241
	v_readlane_b32 s7, v255, 34
	v_and_b32_e32 v22, v22, v25
	v_cndmask_b32_e64 v25, 0, 1, s[6:7]
	v_xor_b32_e32 v26, vcc_lo, v148
	v_cmp_ne_u32_e32 vcc, 0, v25
	v_readlane_b32 s6, v255, 35
	v_xor_b32_e32 v25, vcc_hi, v242
	v_readlane_b32 s7, v255, 36
	v_and_b32_e32 v23, exec_lo, v23
	v_and_b32_e32 v22, v22, v25
	v_cndmask_b32_e64 v25, 0, 1, s[6:7]
	v_and_b32_e32 v23, v23, v26
	v_xor_b32_e32 v26, vcc_lo, v149
	v_cmp_ne_u32_e32 vcc, 0, v25
	v_readlane_b32 s6, v255, 37
	v_xor_b32_e32 v25, vcc_hi, v243
	v_readlane_b32 s7, v255, 38
	v_and_b32_e32 v22, v22, v25
	v_cndmask_b32_e64 v25, 0, 1, s[6:7]
	v_and_b32_e32 v23, v23, v26
	v_xor_b32_e32 v26, vcc_lo, v150
	v_cmp_ne_u32_e32 vcc, 0, v25
	v_readlane_b32 s6, v255, 39
	v_xor_b32_e32 v25, vcc_hi, v244
	v_readlane_b32 s7, v255, 40
	;; [unrolled: 8-line block ×3, first 2 shown]
	v_and_b32_e32 v22, v22, v25
	v_cndmask_b32_e64 v25, 0, 1, s[6:7]
	v_and_b32_e32 v23, v23, v26
	v_xor_b32_e32 v26, vcc_lo, v152
	v_cmp_ne_u32_e32 vcc, 0, v25
	v_xor_b32_e32 v25, vcc_hi, v246
	v_and_b32_e32 v22, v22, v25
	v_cndmask_b32_e64 v25, 0, 1, s[72:73]
	v_and_b32_e32 v23, v23, v26
	v_xor_b32_e32 v26, vcc_lo, v153
	v_cmp_ne_u32_e32 vcc, 0, v25
	v_and_b32_e32 v23, v23, v26
	v_xor_b32_e32 v25, vcc_hi, v247
	v_xor_b32_e32 v26, vcc_lo, v154
	v_and_b32_e32 v25, v22, v25
	v_and_b32_e32 v22, v23, v26
	v_mbcnt_lo_u32_b32 v23, v22, 0
	v_mbcnt_hi_u32_b32 v23, v25, v23
	v_cmp_eq_u32_e32 vcc, 0, v23
	s_and_saveexec_b64 s[6:7], vcc
	s_cbranch_execz .LBB23_28
; %bb.27:                               ;   in Loop: Header=BB23_2 Depth=1
	v_bcnt_u32_b32 v22, v22, 0
	v_bcnt_u32_b32 v22, v25, v22
	buffer_load_dword v25, off, s[96:99], 0 offset:80 ; 4-byte Folded Reload
	v_mov_b32_e32 v23, v24
	s_waitcnt vmcnt(0)
	ds_add_u64 v25, v[22:23]
.LBB23_28:                              ;   in Loop: Header=BB23_2 Depth=1
	s_or_b64 exec, exec, s[6:7]
	v_cndmask_b32_e64 v22, 0, 1, s[58:59]
	v_cmp_ne_u32_e32 vcc, 0, v22
	v_cndmask_b32_e64 v25, 0, 1, s[74:75]
	v_xor_b32_e32 v22, vcc_hi, v44
	v_xor_b32_e32 v23, vcc_lo, v43
	v_cmp_ne_u32_e32 vcc, 0, v25
	v_and_b32_e32 v22, exec_hi, v22
	v_xor_b32_e32 v25, vcc_hi, v248
	v_and_b32_e32 v22, v22, v25
	v_cndmask_b32_e64 v25, 0, 1, s[76:77]
	v_xor_b32_e32 v26, vcc_lo, v155
	v_cmp_ne_u32_e32 vcc, 0, v25
	v_xor_b32_e32 v25, vcc_hi, v249
	v_and_b32_e32 v23, exec_lo, v23
	v_and_b32_e32 v22, v22, v25
	v_cndmask_b32_e64 v25, 0, 1, s[78:79]
	v_and_b32_e32 v23, v23, v26
	v_xor_b32_e32 v26, vcc_lo, v156
	v_cmp_ne_u32_e32 vcc, 0, v25
	v_xor_b32_e32 v25, vcc_hi, v250
	v_and_b32_e32 v22, v22, v25
	v_cndmask_b32_e64 v25, 0, 1, s[80:81]
	v_and_b32_e32 v23, v23, v26
	v_xor_b32_e32 v26, vcc_lo, v157
	v_cmp_ne_u32_e32 vcc, 0, v25
	v_xor_b32_e32 v25, vcc_hi, v251
	v_and_b32_e32 v22, v22, v25
	v_cndmask_b32_e64 v25, 0, 1, s[82:83]
	v_and_b32_e32 v23, v23, v26
	v_xor_b32_e32 v26, vcc_lo, v158
	v_cmp_ne_u32_e32 vcc, 0, v25
	v_xor_b32_e32 v25, vcc_hi, v252
	v_and_b32_e32 v22, v22, v25
	v_cndmask_b32_e64 v25, 0, 1, s[84:85]
	v_and_b32_e32 v23, v23, v26
	v_xor_b32_e32 v26, vcc_lo, v159
	v_cmp_ne_u32_e32 vcc, 0, v25
	v_xor_b32_e32 v25, vcc_hi, v160
	v_and_b32_e32 v22, v22, v25
	v_cndmask_b32_e64 v25, 0, 1, s[86:87]
	v_and_b32_e32 v23, v23, v26
	v_xor_b32_e32 v26, vcc_lo, v2
	v_cmp_ne_u32_e32 vcc, 0, v25
	v_and_b32_e32 v23, v23, v26
	v_xor_b32_e32 v25, vcc_hi, v161
	v_xor_b32_e32 v26, vcc_lo, v27
	v_and_b32_e32 v25, v22, v25
	v_and_b32_e32 v22, v23, v26
	v_mbcnt_lo_u32_b32 v23, v22, 0
	v_mbcnt_hi_u32_b32 v23, v25, v23
	v_cmp_eq_u32_e32 vcc, 0, v23
	s_and_saveexec_b64 s[6:7], vcc
	s_cbranch_execz .LBB23_30
; %bb.29:                               ;   in Loop: Header=BB23_2 Depth=1
	v_bcnt_u32_b32 v22, v22, 0
	v_bcnt_u32_b32 v22, v25, v22
	buffer_load_dword v25, off, s[96:99], 0 offset:84 ; 4-byte Folded Reload
	v_mov_b32_e32 v23, v24
	s_waitcnt vmcnt(0)
	ds_add_u64 v25, v[22:23]
.LBB23_30:                              ;   in Loop: Header=BB23_2 Depth=1
	s_or_b64 exec, exec, s[6:7]
	v_cndmask_b32_e64 v22, 0, 1, s[60:61]
	v_cmp_ne_u32_e32 vcc, 0, v22
	v_cndmask_b32_e64 v25, 0, 1, s[88:89]
	v_xor_b32_e32 v22, vcc_hi, v46
	v_xor_b32_e32 v23, vcc_lo, v45
	v_cmp_ne_u32_e32 vcc, 0, v25
	v_and_b32_e32 v22, exec_hi, v22
	v_xor_b32_e32 v25, vcc_hi, v162
	v_and_b32_e32 v22, v22, v25
	v_cndmask_b32_e64 v25, 0, 1, s[90:91]
	v_xor_b32_e32 v26, vcc_lo, v5
	v_cmp_ne_u32_e32 vcc, 0, v25
	v_xor_b32_e32 v25, vcc_hi, v163
	v_and_b32_e32 v23, exec_lo, v23
	v_and_b32_e32 v22, v22, v25
	v_cndmask_b32_e64 v25, 0, 1, s[92:93]
	v_and_b32_e32 v23, v23, v26
	v_xor_b32_e32 v26, vcc_lo, v1
	v_cmp_ne_u32_e32 vcc, 0, v25
	v_xor_b32_e32 v25, vcc_hi, v164
	v_and_b32_e32 v22, v22, v25
	v_cndmask_b32_e64 v25, 0, 1, s[94:95]
	v_and_b32_e32 v23, v23, v26
	v_xor_b32_e32 v26, vcc_lo, v4
	v_cmp_ne_u32_e32 vcc, 0, v25
	v_xor_b32_e32 v25, vcc_hi, v165
	v_and_b32_e32 v22, v22, v25
	v_cndmask_b32_e64 v25, 0, 1, s[0:1]
	v_and_b32_e32 v23, v23, v26
	v_xor_b32_e32 v26, vcc_lo, v3
	v_cmp_ne_u32_e32 vcc, 0, v25
	v_xor_b32_e32 v25, vcc_hi, v166
	;; [unrolled: 62-line block ×4, first 2 shown]
	v_and_b32_e32 v22, v22, v25
	v_cndmask_b32_e64 v25, 0, 1, s[30:31]
	v_and_b32_e32 v23, v23, v26
	v_xor_b32_e32 v26, vcc_lo, v14
	v_cmp_ne_u32_e32 vcc, 0, v25
	v_xor_b32_e32 v25, vcc_hi, v181
	v_and_b32_e32 v22, v22, v25
	v_cndmask_b32_e64 v25, 0, 1, s[66:67]
	v_and_b32_e32 v23, v23, v26
	v_xor_b32_e32 v26, vcc_lo, v17
	v_cmp_ne_u32_e32 vcc, 0, v25
	v_and_b32_e32 v23, v23, v26
	v_xor_b32_e32 v25, vcc_hi, v182
	v_xor_b32_e32 v26, vcc_lo, v20
	v_and_b32_e32 v25, v22, v25
	v_and_b32_e32 v22, v23, v26
	v_mbcnt_lo_u32_b32 v23, v22, 0
	v_mbcnt_hi_u32_b32 v23, v25, v23
	v_cmp_eq_u32_e32 vcc, 0, v23
	s_and_saveexec_b64 s[6:7], vcc
	s_cbranch_execz .LBB23_1
; %bb.35:                               ;   in Loop: Header=BB23_2 Depth=1
	v_bcnt_u32_b32 v22, v22, 0
	v_bcnt_u32_b32 v22, v25, v22
	buffer_load_dword v25, off, s[96:99], 0 offset:96 ; 4-byte Folded Reload
	v_mov_b32_e32 v23, v24
	s_waitcnt vmcnt(0)
	ds_add_u64 v25, v[22:23]
	s_branch .LBB23_1
.LBB23_36:
	s_and_saveexec_b64 s[0:1], s[70:71]
	s_cbranch_execz .LBB23_38
; %bb.37:
	buffer_load_dword v0, off, s[96:99], 0 offset:100 ; 4-byte Folded Reload
	buffer_load_dword v2, off, s[96:99], 0 offset:36 ; 4-byte Folded Reload
	v_readlane_b32 s0, v253, 0
	v_mov_b32_e32 v1, 0
	s_waitcnt vmcnt(1)
	v_lshl_or_b32 v0, s0, 8, v0
	s_waitcnt vmcnt(0)
	ds_read_b64 v[2:3], v2
	v_lshlrev_b64 v[0:1], 3, v[0:1]
	v_readlane_b32 s0, v253, 1
	v_readlane_b32 s2, v253, 3
	;; [unrolled: 1-line block ×3, first 2 shown]
	v_mov_b32_e32 v4, s3
	v_add_co_u32_e32 v0, vcc, s2, v0
	v_addc_co_u32_e32 v1, vcc, v4, v1, vcc
	v_readlane_b32 s1, v253, 2
	s_waitcnt lgkmcnt(0)
	global_store_dwordx2 v[0:1], v[2:3], off
.LBB23_38:
	s_endpgm
	.section	.rodata,"a",@progbits
	.p2align	6, 0x0
	.amdhsa_kernel _Z6kernelI9histogramILN6hipcub23BlockHistogramAlgorithmE0EEyLj256ELj16ELj256ELj100EEvPKT0_PS4_
		.amdhsa_group_segment_fixed_size 2048
		.amdhsa_private_segment_fixed_size 108
		.amdhsa_kernarg_size 16
		.amdhsa_user_sgpr_count 6
		.amdhsa_user_sgpr_private_segment_buffer 1
		.amdhsa_user_sgpr_dispatch_ptr 0
		.amdhsa_user_sgpr_queue_ptr 0
		.amdhsa_user_sgpr_kernarg_segment_ptr 1
		.amdhsa_user_sgpr_dispatch_id 0
		.amdhsa_user_sgpr_flat_scratch_init 0
		.amdhsa_user_sgpr_private_segment_size 0
		.amdhsa_uses_dynamic_stack 0
		.amdhsa_system_sgpr_private_segment_wavefront_offset 1
		.amdhsa_system_sgpr_workgroup_id_x 1
		.amdhsa_system_sgpr_workgroup_id_y 0
		.amdhsa_system_sgpr_workgroup_id_z 0
		.amdhsa_system_sgpr_workgroup_info 0
		.amdhsa_system_vgpr_workitem_id 0
		.amdhsa_next_free_vgpr 256
		.amdhsa_next_free_sgpr 100
		.amdhsa_reserve_vcc 1
		.amdhsa_reserve_flat_scratch 0
		.amdhsa_float_round_mode_32 0
		.amdhsa_float_round_mode_16_64 0
		.amdhsa_float_denorm_mode_32 3
		.amdhsa_float_denorm_mode_16_64 3
		.amdhsa_dx10_clamp 1
		.amdhsa_ieee_mode 1
		.amdhsa_fp16_overflow 0
		.amdhsa_exception_fp_ieee_invalid_op 0
		.amdhsa_exception_fp_denorm_src 0
		.amdhsa_exception_fp_ieee_div_zero 0
		.amdhsa_exception_fp_ieee_overflow 0
		.amdhsa_exception_fp_ieee_underflow 0
		.amdhsa_exception_fp_ieee_inexact 0
		.amdhsa_exception_int_div_zero 0
	.end_amdhsa_kernel
	.section	.text._Z6kernelI9histogramILN6hipcub23BlockHistogramAlgorithmE0EEyLj256ELj16ELj256ELj100EEvPKT0_PS4_,"axG",@progbits,_Z6kernelI9histogramILN6hipcub23BlockHistogramAlgorithmE0EEyLj256ELj16ELj256ELj100EEvPKT0_PS4_,comdat
.Lfunc_end23:
	.size	_Z6kernelI9histogramILN6hipcub23BlockHistogramAlgorithmE0EEyLj256ELj16ELj256ELj100EEvPKT0_PS4_, .Lfunc_end23-_Z6kernelI9histogramILN6hipcub23BlockHistogramAlgorithmE0EEyLj256ELj16ELj256ELj100EEvPKT0_PS4_
                                        ; -- End function
	.set _Z6kernelI9histogramILN6hipcub23BlockHistogramAlgorithmE0EEyLj256ELj16ELj256ELj100EEvPKT0_PS4_.num_vgpr, 256
	.set _Z6kernelI9histogramILN6hipcub23BlockHistogramAlgorithmE0EEyLj256ELj16ELj256ELj100EEvPKT0_PS4_.num_agpr, 0
	.set _Z6kernelI9histogramILN6hipcub23BlockHistogramAlgorithmE0EEyLj256ELj16ELj256ELj100EEvPKT0_PS4_.numbered_sgpr, 100
	.set _Z6kernelI9histogramILN6hipcub23BlockHistogramAlgorithmE0EEyLj256ELj16ELj256ELj100EEvPKT0_PS4_.num_named_barrier, 0
	.set _Z6kernelI9histogramILN6hipcub23BlockHistogramAlgorithmE0EEyLj256ELj16ELj256ELj100EEvPKT0_PS4_.private_seg_size, 108
	.set _Z6kernelI9histogramILN6hipcub23BlockHistogramAlgorithmE0EEyLj256ELj16ELj256ELj100EEvPKT0_PS4_.uses_vcc, 1
	.set _Z6kernelI9histogramILN6hipcub23BlockHistogramAlgorithmE0EEyLj256ELj16ELj256ELj100EEvPKT0_PS4_.uses_flat_scratch, 0
	.set _Z6kernelI9histogramILN6hipcub23BlockHistogramAlgorithmE0EEyLj256ELj16ELj256ELj100EEvPKT0_PS4_.has_dyn_sized_stack, 0
	.set _Z6kernelI9histogramILN6hipcub23BlockHistogramAlgorithmE0EEyLj256ELj16ELj256ELj100EEvPKT0_PS4_.has_recursion, 0
	.set _Z6kernelI9histogramILN6hipcub23BlockHistogramAlgorithmE0EEyLj256ELj16ELj256ELj100EEvPKT0_PS4_.has_indirect_call, 0
	.section	.AMDGPU.csdata,"",@progbits
; Kernel info:
; codeLenInByte = 11244
; TotalNumSgprs: 104
; NumVgprs: 256
; ScratchSize: 108
; MemoryBound: 0
; FloatMode: 240
; IeeeMode: 1
; LDSByteSize: 2048 bytes/workgroup (compile time only)
; SGPRBlocks: 12
; VGPRBlocks: 63
; NumSGPRsForWavesPerEU: 104
; NumVGPRsForWavesPerEU: 256
; Occupancy: 1
; WaveLimiterHint : 0
; COMPUTE_PGM_RSRC2:SCRATCH_EN: 1
; COMPUTE_PGM_RSRC2:USER_SGPR: 6
; COMPUTE_PGM_RSRC2:TRAP_HANDLER: 0
; COMPUTE_PGM_RSRC2:TGID_X_EN: 1
; COMPUTE_PGM_RSRC2:TGID_Y_EN: 0
; COMPUTE_PGM_RSRC2:TGID_Z_EN: 0
; COMPUTE_PGM_RSRC2:TIDIG_COMP_CNT: 0
	.section	.text._Z6kernelI9histogramILN6hipcub23BlockHistogramAlgorithmE0EEyLj320ELj1ELj320ELj100EEvPKT0_PS4_,"axG",@progbits,_Z6kernelI9histogramILN6hipcub23BlockHistogramAlgorithmE0EEyLj320ELj1ELj320ELj100EEvPKT0_PS4_,comdat
	.protected	_Z6kernelI9histogramILN6hipcub23BlockHistogramAlgorithmE0EEyLj320ELj1ELj320ELj100EEvPKT0_PS4_ ; -- Begin function _Z6kernelI9histogramILN6hipcub23BlockHistogramAlgorithmE0EEyLj320ELj1ELj320ELj100EEvPKT0_PS4_
	.globl	_Z6kernelI9histogramILN6hipcub23BlockHistogramAlgorithmE0EEyLj320ELj1ELj320ELj100EEvPKT0_PS4_
	.p2align	8
	.type	_Z6kernelI9histogramILN6hipcub23BlockHistogramAlgorithmE0EEyLj320ELj1ELj320ELj100EEvPKT0_PS4_,@function
_Z6kernelI9histogramILN6hipcub23BlockHistogramAlgorithmE0EEyLj320ELj1ELj320ELj100EEvPKT0_PS4_: ; @_Z6kernelI9histogramILN6hipcub23BlockHistogramAlgorithmE0EEyLj320ELj1ELj320ELj100EEvPKT0_PS4_
; %bb.0:
	s_load_dwordx4 s[20:23], s[4:5], 0x0
	s_mulk_i32 s6, 0x140
	v_mov_b32_e32 v3, 0
	v_add_u32_e32 v1, s6, v0
	v_mov_b32_e32 v2, v3
	v_lshlrev_b64 v[1:2], 3, v[1:2]
	s_waitcnt lgkmcnt(0)
	v_mov_b32_e32 v5, s21
	v_add_co_u32_e32 v4, vcc, s20, v1
	v_addc_co_u32_e32 v5, vcc, v5, v2, vcc
	global_load_dwordx2 v[17:18], v[4:5], off
	s_movk_i32 s0, 0x140
	v_cmp_gt_u32_e32 vcc, s0, v0
	s_movk_i32 s24, 0x64
	v_lshlrev_b32_e32 v0, 3, v0
	s_waitcnt vmcnt(0)
	v_and_b32_e32 v8, 1, v17
	v_add_co_u32_e64 v6, s[0:1], -1, v8
	v_lshlrev_b32_e32 v4, 30, v17
	v_addc_co_u32_e64 v7, s[0:1], 0, -1, s[0:1]
	v_cmp_eq_u32_e64 s[0:1], 1, v8
	v_cmp_gt_i64_e64 s[2:3], 0, v[3:4]
	v_not_b32_e32 v8, v4
	v_lshlrev_b32_e32 v4, 29, v17
	v_cmp_gt_i64_e64 s[4:5], 0, v[3:4]
	v_not_b32_e32 v10, v4
	v_lshlrev_b32_e32 v4, 28, v17
	;; [unrolled: 3-line block ×8, first 2 shown]
	v_ashrrev_i32_e32 v8, 31, v8
	v_ashrrev_i32_e32 v10, 31, v10
	;; [unrolled: 1-line block ×8, first 2 shown]
	v_mov_b32_e32 v9, v8
	v_mov_b32_e32 v11, v10
	v_mov_b32_e32 v13, v12
	v_mov_b32_e32 v15, v14
	v_mov_b32_e32 v18, v16
	v_mov_b32_e32 v20, v17
	v_mov_b32_e32 v22, v19
	v_mov_b32_e32 v23, v21
	s_branch .LBB24_2
.LBB24_1:                               ;   in Loop: Header=BB24_2 Depth=1
	s_or_b64 exec, exec, s[20:21]
	s_add_i32 s24, s24, -1
	s_cmp_lg_u32 s24, 0
	s_waitcnt lgkmcnt(0)
	s_barrier
	s_cbranch_scc0 .LBB24_6
.LBB24_2:                               ; =>This Inner Loop Header: Depth=1
	s_and_saveexec_b64 s[18:19], vcc
; %bb.3:                                ;   in Loop: Header=BB24_2 Depth=1
	v_mov_b32_e32 v4, v3
	ds_write_b64 v0, v[3:4]
; %bb.4:                                ;   in Loop: Header=BB24_2 Depth=1
	s_or_b64 exec, exec, s[18:19]
	v_cndmask_b32_e64 v4, 0, 1, s[0:1]
	v_cmp_ne_u32_e64 s[18:19], 0, v4
	v_cndmask_b32_e64 v4, 0, 1, s[2:3]
	v_cmp_ne_u32_e64 s[20:21], 0, v4
	v_xor_b32_e32 v4, s19, v7
	v_and_b32_e32 v4, exec_hi, v4
	v_xor_b32_e32 v24, s21, v9
	v_and_b32_e32 v4, v4, v24
	v_xor_b32_e32 v24, s18, v6
	v_and_b32_e32 v24, exec_lo, v24
	v_xor_b32_e32 v25, s20, v8
	v_and_b32_e32 v24, v24, v25
	v_cndmask_b32_e64 v25, 0, 1, s[4:5]
	v_cmp_ne_u32_e64 s[18:19], 0, v25
	v_xor_b32_e32 v25, s19, v11
	v_and_b32_e32 v4, v4, v25
	v_xor_b32_e32 v25, s18, v10
	v_and_b32_e32 v24, v24, v25
	v_cndmask_b32_e64 v25, 0, 1, s[6:7]
	v_cmp_ne_u32_e64 s[18:19], 0, v25
	v_xor_b32_e32 v25, s19, v13
	v_and_b32_e32 v4, v4, v25
	;; [unrolled: 6-line block ×7, first 2 shown]
	v_xor_b32_e32 v25, s18, v21
	v_and_b32_e32 v24, v24, v25
	v_mbcnt_lo_u32_b32 v25, v24, 0
	v_mbcnt_hi_u32_b32 v25, v4, v25
	v_cmp_eq_u32_e64 s[18:19], 0, v25
	s_waitcnt lgkmcnt(0)
	s_barrier
	s_and_saveexec_b64 s[20:21], s[18:19]
	s_cbranch_execz .LBB24_1
; %bb.5:                                ;   in Loop: Header=BB24_2 Depth=1
	v_bcnt_u32_b32 v24, v24, 0
	v_bcnt_u32_b32 v24, v4, v24
	v_mov_b32_e32 v25, v3
	ds_add_u64 v5, v[24:25]
	s_branch .LBB24_1
.LBB24_6:
	s_and_saveexec_b64 s[0:1], vcc
	s_cbranch_execz .LBB24_8
; %bb.7:
	ds_read_b64 v[3:4], v0
	v_mov_b32_e32 v5, s23
	v_add_co_u32_e32 v0, vcc, s22, v1
	v_addc_co_u32_e32 v1, vcc, v5, v2, vcc
	s_waitcnt lgkmcnt(0)
	global_store_dwordx2 v[0:1], v[3:4], off
.LBB24_8:
	s_endpgm
	.section	.rodata,"a",@progbits
	.p2align	6, 0x0
	.amdhsa_kernel _Z6kernelI9histogramILN6hipcub23BlockHistogramAlgorithmE0EEyLj320ELj1ELj320ELj100EEvPKT0_PS4_
		.amdhsa_group_segment_fixed_size 2560
		.amdhsa_private_segment_fixed_size 0
		.amdhsa_kernarg_size 16
		.amdhsa_user_sgpr_count 6
		.amdhsa_user_sgpr_private_segment_buffer 1
		.amdhsa_user_sgpr_dispatch_ptr 0
		.amdhsa_user_sgpr_queue_ptr 0
		.amdhsa_user_sgpr_kernarg_segment_ptr 1
		.amdhsa_user_sgpr_dispatch_id 0
		.amdhsa_user_sgpr_flat_scratch_init 0
		.amdhsa_user_sgpr_private_segment_size 0
		.amdhsa_uses_dynamic_stack 0
		.amdhsa_system_sgpr_private_segment_wavefront_offset 0
		.amdhsa_system_sgpr_workgroup_id_x 1
		.amdhsa_system_sgpr_workgroup_id_y 0
		.amdhsa_system_sgpr_workgroup_id_z 0
		.amdhsa_system_sgpr_workgroup_info 0
		.amdhsa_system_vgpr_workitem_id 0
		.amdhsa_next_free_vgpr 26
		.amdhsa_next_free_sgpr 25
		.amdhsa_reserve_vcc 1
		.amdhsa_reserve_flat_scratch 0
		.amdhsa_float_round_mode_32 0
		.amdhsa_float_round_mode_16_64 0
		.amdhsa_float_denorm_mode_32 3
		.amdhsa_float_denorm_mode_16_64 3
		.amdhsa_dx10_clamp 1
		.amdhsa_ieee_mode 1
		.amdhsa_fp16_overflow 0
		.amdhsa_exception_fp_ieee_invalid_op 0
		.amdhsa_exception_fp_denorm_src 0
		.amdhsa_exception_fp_ieee_div_zero 0
		.amdhsa_exception_fp_ieee_overflow 0
		.amdhsa_exception_fp_ieee_underflow 0
		.amdhsa_exception_fp_ieee_inexact 0
		.amdhsa_exception_int_div_zero 0
	.end_amdhsa_kernel
	.section	.text._Z6kernelI9histogramILN6hipcub23BlockHistogramAlgorithmE0EEyLj320ELj1ELj320ELj100EEvPKT0_PS4_,"axG",@progbits,_Z6kernelI9histogramILN6hipcub23BlockHistogramAlgorithmE0EEyLj320ELj1ELj320ELj100EEvPKT0_PS4_,comdat
.Lfunc_end24:
	.size	_Z6kernelI9histogramILN6hipcub23BlockHistogramAlgorithmE0EEyLj320ELj1ELj320ELj100EEvPKT0_PS4_, .Lfunc_end24-_Z6kernelI9histogramILN6hipcub23BlockHistogramAlgorithmE0EEyLj320ELj1ELj320ELj100EEvPKT0_PS4_
                                        ; -- End function
	.set _Z6kernelI9histogramILN6hipcub23BlockHistogramAlgorithmE0EEyLj320ELj1ELj320ELj100EEvPKT0_PS4_.num_vgpr, 26
	.set _Z6kernelI9histogramILN6hipcub23BlockHistogramAlgorithmE0EEyLj320ELj1ELj320ELj100EEvPKT0_PS4_.num_agpr, 0
	.set _Z6kernelI9histogramILN6hipcub23BlockHistogramAlgorithmE0EEyLj320ELj1ELj320ELj100EEvPKT0_PS4_.numbered_sgpr, 25
	.set _Z6kernelI9histogramILN6hipcub23BlockHistogramAlgorithmE0EEyLj320ELj1ELj320ELj100EEvPKT0_PS4_.num_named_barrier, 0
	.set _Z6kernelI9histogramILN6hipcub23BlockHistogramAlgorithmE0EEyLj320ELj1ELj320ELj100EEvPKT0_PS4_.private_seg_size, 0
	.set _Z6kernelI9histogramILN6hipcub23BlockHistogramAlgorithmE0EEyLj320ELj1ELj320ELj100EEvPKT0_PS4_.uses_vcc, 1
	.set _Z6kernelI9histogramILN6hipcub23BlockHistogramAlgorithmE0EEyLj320ELj1ELj320ELj100EEvPKT0_PS4_.uses_flat_scratch, 0
	.set _Z6kernelI9histogramILN6hipcub23BlockHistogramAlgorithmE0EEyLj320ELj1ELj320ELj100EEvPKT0_PS4_.has_dyn_sized_stack, 0
	.set _Z6kernelI9histogramILN6hipcub23BlockHistogramAlgorithmE0EEyLj320ELj1ELj320ELj100EEvPKT0_PS4_.has_recursion, 0
	.set _Z6kernelI9histogramILN6hipcub23BlockHistogramAlgorithmE0EEyLj320ELj1ELj320ELj100EEvPKT0_PS4_.has_indirect_call, 0
	.section	.AMDGPU.csdata,"",@progbits
; Kernel info:
; codeLenInByte = 752
; TotalNumSgprs: 29
; NumVgprs: 26
; ScratchSize: 0
; MemoryBound: 0
; FloatMode: 240
; IeeeMode: 1
; LDSByteSize: 2560 bytes/workgroup (compile time only)
; SGPRBlocks: 3
; VGPRBlocks: 6
; NumSGPRsForWavesPerEU: 29
; NumVGPRsForWavesPerEU: 26
; Occupancy: 9
; WaveLimiterHint : 0
; COMPUTE_PGM_RSRC2:SCRATCH_EN: 0
; COMPUTE_PGM_RSRC2:USER_SGPR: 6
; COMPUTE_PGM_RSRC2:TRAP_HANDLER: 0
; COMPUTE_PGM_RSRC2:TGID_X_EN: 1
; COMPUTE_PGM_RSRC2:TGID_Y_EN: 0
; COMPUTE_PGM_RSRC2:TGID_Z_EN: 0
; COMPUTE_PGM_RSRC2:TIDIG_COMP_CNT: 0
	.section	.text._Z6kernelI9histogramILN6hipcub23BlockHistogramAlgorithmE0EEyLj320ELj2ELj320ELj100EEvPKT0_PS4_,"axG",@progbits,_Z6kernelI9histogramILN6hipcub23BlockHistogramAlgorithmE0EEyLj320ELj2ELj320ELj100EEvPKT0_PS4_,comdat
	.protected	_Z6kernelI9histogramILN6hipcub23BlockHistogramAlgorithmE0EEyLj320ELj2ELj320ELj100EEvPKT0_PS4_ ; -- Begin function _Z6kernelI9histogramILN6hipcub23BlockHistogramAlgorithmE0EEyLj320ELj2ELj320ELj100EEvPKT0_PS4_
	.globl	_Z6kernelI9histogramILN6hipcub23BlockHistogramAlgorithmE0EEyLj320ELj2ELj320ELj100EEvPKT0_PS4_
	.p2align	8
	.type	_Z6kernelI9histogramILN6hipcub23BlockHistogramAlgorithmE0EEyLj320ELj2ELj320ELj100EEvPKT0_PS4_,@function
_Z6kernelI9histogramILN6hipcub23BlockHistogramAlgorithmE0EEyLj320ELj2ELj320ELj100EEvPKT0_PS4_: ; @_Z6kernelI9histogramILN6hipcub23BlockHistogramAlgorithmE0EEyLj320ELj2ELj320ELj100EEvPKT0_PS4_
; %bb.0:
	s_load_dwordx4 s[40:43], s[4:5], 0x0
	s_mulk_i32 s6, 0x140
	v_add_u32_e32 v5, s6, v0
	v_mov_b32_e32 v6, 0
	v_lshlrev_b32_e32 v1, 1, v5
	v_mov_b32_e32 v2, v6
	v_lshlrev_b64 v[1:2], 3, v[1:2]
	s_waitcnt lgkmcnt(0)
	v_mov_b32_e32 v3, s41
	v_add_co_u32_e32 v1, vcc, s40, v1
	v_addc_co_u32_e32 v2, vcc, v3, v2, vcc
	global_load_dwordx4 v[1:4], v[1:2], off
	s_movk_i32 s0, 0x140
	v_cmp_gt_u32_e32 vcc, s0, v0
	s_movk_i32 s33, 0x64
	v_lshlrev_b32_e32 v0, 3, v0
	s_waitcnt vmcnt(0)
	v_and_b32_e32 v8, 1, v1
	v_cmp_eq_u32_e64 s[2:3], 1, v8
	v_add_co_u32_e64 v8, s[6:7], -1, v8
	v_and_b32_e32 v10, 1, v3
	v_addc_co_u32_e64 v9, s[6:7], 0, -1, s[6:7]
	v_lshlrev_b32_e32 v7, 30, v1
	v_cmp_eq_u32_e64 s[4:5], 1, v10
	v_add_co_u32_e64 v10, s[6:7], -1, v10
	v_cmp_gt_i64_e64 s[0:1], 0, v[6:7]
	v_not_b32_e32 v12, v7
	v_lshlrev_b32_e32 v7, 29, v1
	v_addc_co_u32_e64 v11, s[6:7], 0, -1, s[6:7]
	v_cmp_gt_i64_e64 s[6:7], 0, v[6:7]
	v_not_b32_e32 v13, v7
	v_lshlrev_b32_e32 v7, 28, v1
	v_cmp_gt_i64_e64 s[8:9], 0, v[6:7]
	v_not_b32_e32 v15, v7
	v_lshlrev_b32_e32 v7, 27, v1
	;; [unrolled: 3-line block ×15, first 2 shown]
	v_lshlrev_b32_e32 v4, 3, v3
	v_ashrrev_i32_e32 v12, 31, v12
	v_ashrrev_i32_e32 v13, 31, v13
	v_ashrrev_i32_e32 v15, 31, v15
	v_ashrrev_i32_e32 v17, 31, v17
	v_ashrrev_i32_e32 v19, 31, v19
	v_ashrrev_i32_e32 v1, 31, v21
	v_ashrrev_i32_e32 v22, 31, v22
	v_ashrrev_i32_e32 v24, 31, v24
	v_ashrrev_i32_e32 v26, 31, v26
	v_ashrrev_i32_e32 v28, 31, v28
	v_ashrrev_i32_e32 v29, 31, v29
	v_ashrrev_i32_e32 v30, 31, v30
	v_ashrrev_i32_e32 v31, 31, v31
	v_ashrrev_i32_e32 v3, 31, v32
	v_ashrrev_i32_e32 v32, 31, v33
	v_ashrrev_i32_e32 v33, 31, v7
	v_mov_b32_e32 v14, v12
	v_mov_b32_e32 v16, v13
	;; [unrolled: 1-line block ×16, first 2 shown]
	s_branch .LBB25_2
.LBB25_1:                               ;   in Loop: Header=BB25_2 Depth=1
	s_or_b64 exec, exec, s[40:41]
	s_add_i32 s33, s33, -1
	s_cmp_lg_u32 s33, 0
	s_waitcnt lgkmcnt(0)
	s_barrier
	s_cbranch_scc0 .LBB25_8
.LBB25_2:                               ; =>This Inner Loop Header: Depth=1
	s_and_saveexec_b64 s[38:39], vcc
; %bb.3:                                ;   in Loop: Header=BB25_2 Depth=1
	v_mov_b32_e32 v7, v6
	ds_write_b64 v0, v[6:7]
; %bb.4:                                ;   in Loop: Header=BB25_2 Depth=1
	s_or_b64 exec, exec, s[38:39]
	v_cndmask_b32_e64 v7, 0, 1, s[2:3]
	v_cmp_ne_u32_e64 s[38:39], 0, v7
	v_cndmask_b32_e64 v43, 0, 1, s[0:1]
	v_xor_b32_e32 v7, s39, v9
	v_xor_b32_e32 v42, s38, v8
	v_cmp_ne_u32_e64 s[38:39], 0, v43
	v_and_b32_e32 v7, exec_hi, v7
	v_xor_b32_e32 v43, s39, v14
	v_and_b32_e32 v7, v7, v43
	v_cndmask_b32_e64 v43, 0, 1, s[6:7]
	v_xor_b32_e32 v44, s38, v12
	v_cmp_ne_u32_e64 s[38:39], 0, v43
	v_xor_b32_e32 v43, s39, v16
	v_and_b32_e32 v42, exec_lo, v42
	v_and_b32_e32 v7, v7, v43
	v_cndmask_b32_e64 v43, 0, 1, s[8:9]
	v_and_b32_e32 v42, v42, v44
	v_xor_b32_e32 v44, s38, v13
	v_cmp_ne_u32_e64 s[38:39], 0, v43
	v_xor_b32_e32 v43, s39, v18
	v_and_b32_e32 v7, v7, v43
	v_cndmask_b32_e64 v43, 0, 1, s[10:11]
	v_and_b32_e32 v42, v42, v44
	v_xor_b32_e32 v44, s38, v15
	v_cmp_ne_u32_e64 s[38:39], 0, v43
	v_xor_b32_e32 v43, s39, v20
	;; [unrolled: 6-line block ×5, first 2 shown]
	v_and_b32_e32 v7, v7, v43
	v_cndmask_b32_e64 v43, 0, 1, s[18:19]
	v_and_b32_e32 v42, v42, v44
	v_xor_b32_e32 v44, s38, v22
	v_cmp_ne_u32_e64 s[38:39], 0, v43
	v_and_b32_e32 v42, v42, v44
	v_xor_b32_e32 v44, s38, v24
	v_xor_b32_e32 v43, s39, v27
	v_and_b32_e32 v42, v42, v44
	v_and_b32_e32 v7, v7, v43
	v_mbcnt_lo_u32_b32 v43, v42, 0
	v_mbcnt_hi_u32_b32 v43, v7, v43
	v_cmp_eq_u32_e64 s[38:39], 0, v43
	s_waitcnt lgkmcnt(0)
	s_barrier
	s_and_saveexec_b64 s[40:41], s[38:39]
; %bb.5:                                ;   in Loop: Header=BB25_2 Depth=1
	v_bcnt_u32_b32 v42, v42, 0
	v_bcnt_u32_b32 v42, v7, v42
	v_mov_b32_e32 v43, v6
	ds_add_u64 v2, v[42:43]
; %bb.6:                                ;   in Loop: Header=BB25_2 Depth=1
	s_or_b64 exec, exec, s[40:41]
	v_cndmask_b32_e64 v7, 0, 1, s[4:5]
	v_cmp_ne_u32_e64 s[38:39], 0, v7
	v_cndmask_b32_e64 v43, 0, 1, s[20:21]
	v_xor_b32_e32 v7, s39, v11
	v_xor_b32_e32 v42, s38, v10
	v_cmp_ne_u32_e64 s[38:39], 0, v43
	v_and_b32_e32 v7, exec_hi, v7
	v_xor_b32_e32 v43, s39, v34
	v_and_b32_e32 v7, v7, v43
	v_cndmask_b32_e64 v43, 0, 1, s[22:23]
	v_xor_b32_e32 v44, s38, v26
	v_cmp_ne_u32_e64 s[38:39], 0, v43
	v_xor_b32_e32 v43, s39, v35
	v_and_b32_e32 v42, exec_lo, v42
	v_and_b32_e32 v7, v7, v43
	v_cndmask_b32_e64 v43, 0, 1, s[24:25]
	v_and_b32_e32 v42, v42, v44
	v_xor_b32_e32 v44, s38, v28
	v_cmp_ne_u32_e64 s[38:39], 0, v43
	v_xor_b32_e32 v43, s39, v36
	v_and_b32_e32 v7, v7, v43
	v_cndmask_b32_e64 v43, 0, 1, s[26:27]
	v_and_b32_e32 v42, v42, v44
	v_xor_b32_e32 v44, s38, v29
	v_cmp_ne_u32_e64 s[38:39], 0, v43
	v_xor_b32_e32 v43, s39, v37
	;; [unrolled: 6-line block ×5, first 2 shown]
	v_and_b32_e32 v7, v7, v43
	v_cndmask_b32_e64 v43, 0, 1, s[36:37]
	v_and_b32_e32 v42, v42, v44
	v_xor_b32_e32 v44, s38, v32
	v_cmp_ne_u32_e64 s[38:39], 0, v43
	v_and_b32_e32 v42, v42, v44
	v_xor_b32_e32 v44, s38, v33
	v_xor_b32_e32 v43, s39, v41
	v_and_b32_e32 v42, v42, v44
	v_and_b32_e32 v7, v7, v43
	v_mbcnt_lo_u32_b32 v43, v42, 0
	v_mbcnt_hi_u32_b32 v43, v7, v43
	v_cmp_eq_u32_e64 s[38:39], 0, v43
	s_and_saveexec_b64 s[40:41], s[38:39]
	s_cbranch_execz .LBB25_1
; %bb.7:                                ;   in Loop: Header=BB25_2 Depth=1
	v_bcnt_u32_b32 v42, v42, 0
	v_bcnt_u32_b32 v42, v7, v42
	v_mov_b32_e32 v43, v6
	ds_add_u64 v4, v[42:43]
	s_branch .LBB25_1
.LBB25_8:
	s_and_saveexec_b64 s[0:1], vcc
	s_cbranch_execz .LBB25_10
; %bb.9:
	v_mov_b32_e32 v6, 0
	ds_read_b64 v[3:4], v0
	v_lshlrev_b64 v[1:2], 3, v[5:6]
	v_mov_b32_e32 v5, s43
	v_add_co_u32_e32 v0, vcc, s42, v1
	v_addc_co_u32_e32 v1, vcc, v5, v2, vcc
	s_waitcnt lgkmcnt(0)
	global_store_dwordx2 v[0:1], v[3:4], off
.LBB25_10:
	s_endpgm
	.section	.rodata,"a",@progbits
	.p2align	6, 0x0
	.amdhsa_kernel _Z6kernelI9histogramILN6hipcub23BlockHistogramAlgorithmE0EEyLj320ELj2ELj320ELj100EEvPKT0_PS4_
		.amdhsa_group_segment_fixed_size 2560
		.amdhsa_private_segment_fixed_size 0
		.amdhsa_kernarg_size 16
		.amdhsa_user_sgpr_count 6
		.amdhsa_user_sgpr_private_segment_buffer 1
		.amdhsa_user_sgpr_dispatch_ptr 0
		.amdhsa_user_sgpr_queue_ptr 0
		.amdhsa_user_sgpr_kernarg_segment_ptr 1
		.amdhsa_user_sgpr_dispatch_id 0
		.amdhsa_user_sgpr_flat_scratch_init 0
		.amdhsa_user_sgpr_private_segment_size 0
		.amdhsa_uses_dynamic_stack 0
		.amdhsa_system_sgpr_private_segment_wavefront_offset 0
		.amdhsa_system_sgpr_workgroup_id_x 1
		.amdhsa_system_sgpr_workgroup_id_y 0
		.amdhsa_system_sgpr_workgroup_id_z 0
		.amdhsa_system_sgpr_workgroup_info 0
		.amdhsa_system_vgpr_workitem_id 0
		.amdhsa_next_free_vgpr 45
		.amdhsa_next_free_sgpr 44
		.amdhsa_reserve_vcc 1
		.amdhsa_reserve_flat_scratch 0
		.amdhsa_float_round_mode_32 0
		.amdhsa_float_round_mode_16_64 0
		.amdhsa_float_denorm_mode_32 3
		.amdhsa_float_denorm_mode_16_64 3
		.amdhsa_dx10_clamp 1
		.amdhsa_ieee_mode 1
		.amdhsa_fp16_overflow 0
		.amdhsa_exception_fp_ieee_invalid_op 0
		.amdhsa_exception_fp_denorm_src 0
		.amdhsa_exception_fp_ieee_div_zero 0
		.amdhsa_exception_fp_ieee_overflow 0
		.amdhsa_exception_fp_ieee_underflow 0
		.amdhsa_exception_fp_ieee_inexact 0
		.amdhsa_exception_int_div_zero 0
	.end_amdhsa_kernel
	.section	.text._Z6kernelI9histogramILN6hipcub23BlockHistogramAlgorithmE0EEyLj320ELj2ELj320ELj100EEvPKT0_PS4_,"axG",@progbits,_Z6kernelI9histogramILN6hipcub23BlockHistogramAlgorithmE0EEyLj320ELj2ELj320ELj100EEvPKT0_PS4_,comdat
.Lfunc_end25:
	.size	_Z6kernelI9histogramILN6hipcub23BlockHistogramAlgorithmE0EEyLj320ELj2ELj320ELj100EEvPKT0_PS4_, .Lfunc_end25-_Z6kernelI9histogramILN6hipcub23BlockHistogramAlgorithmE0EEyLj320ELj2ELj320ELj100EEvPKT0_PS4_
                                        ; -- End function
	.set _Z6kernelI9histogramILN6hipcub23BlockHistogramAlgorithmE0EEyLj320ELj2ELj320ELj100EEvPKT0_PS4_.num_vgpr, 45
	.set _Z6kernelI9histogramILN6hipcub23BlockHistogramAlgorithmE0EEyLj320ELj2ELj320ELj100EEvPKT0_PS4_.num_agpr, 0
	.set _Z6kernelI9histogramILN6hipcub23BlockHistogramAlgorithmE0EEyLj320ELj2ELj320ELj100EEvPKT0_PS4_.numbered_sgpr, 44
	.set _Z6kernelI9histogramILN6hipcub23BlockHistogramAlgorithmE0EEyLj320ELj2ELj320ELj100EEvPKT0_PS4_.num_named_barrier, 0
	.set _Z6kernelI9histogramILN6hipcub23BlockHistogramAlgorithmE0EEyLj320ELj2ELj320ELj100EEvPKT0_PS4_.private_seg_size, 0
	.set _Z6kernelI9histogramILN6hipcub23BlockHistogramAlgorithmE0EEyLj320ELj2ELj320ELj100EEvPKT0_PS4_.uses_vcc, 1
	.set _Z6kernelI9histogramILN6hipcub23BlockHistogramAlgorithmE0EEyLj320ELj2ELj320ELj100EEvPKT0_PS4_.uses_flat_scratch, 0
	.set _Z6kernelI9histogramILN6hipcub23BlockHistogramAlgorithmE0EEyLj320ELj2ELj320ELj100EEvPKT0_PS4_.has_dyn_sized_stack, 0
	.set _Z6kernelI9histogramILN6hipcub23BlockHistogramAlgorithmE0EEyLj320ELj2ELj320ELj100EEvPKT0_PS4_.has_recursion, 0
	.set _Z6kernelI9histogramILN6hipcub23BlockHistogramAlgorithmE0EEyLj320ELj2ELj320ELj100EEvPKT0_PS4_.has_indirect_call, 0
	.section	.AMDGPU.csdata,"",@progbits
; Kernel info:
; codeLenInByte = 1340
; TotalNumSgprs: 48
; NumVgprs: 45
; ScratchSize: 0
; MemoryBound: 0
; FloatMode: 240
; IeeeMode: 1
; LDSByteSize: 2560 bytes/workgroup (compile time only)
; SGPRBlocks: 5
; VGPRBlocks: 11
; NumSGPRsForWavesPerEU: 48
; NumVGPRsForWavesPerEU: 45
; Occupancy: 5
; WaveLimiterHint : 0
; COMPUTE_PGM_RSRC2:SCRATCH_EN: 0
; COMPUTE_PGM_RSRC2:USER_SGPR: 6
; COMPUTE_PGM_RSRC2:TRAP_HANDLER: 0
; COMPUTE_PGM_RSRC2:TGID_X_EN: 1
; COMPUTE_PGM_RSRC2:TGID_Y_EN: 0
; COMPUTE_PGM_RSRC2:TGID_Z_EN: 0
; COMPUTE_PGM_RSRC2:TIDIG_COMP_CNT: 0
	.section	.text._Z6kernelI9histogramILN6hipcub23BlockHistogramAlgorithmE0EEyLj320ELj3ELj320ELj100EEvPKT0_PS4_,"axG",@progbits,_Z6kernelI9histogramILN6hipcub23BlockHistogramAlgorithmE0EEyLj320ELj3ELj320ELj100EEvPKT0_PS4_,comdat
	.protected	_Z6kernelI9histogramILN6hipcub23BlockHistogramAlgorithmE0EEyLj320ELj3ELj320ELj100EEvPKT0_PS4_ ; -- Begin function _Z6kernelI9histogramILN6hipcub23BlockHistogramAlgorithmE0EEyLj320ELj3ELj320ELj100EEvPKT0_PS4_
	.globl	_Z6kernelI9histogramILN6hipcub23BlockHistogramAlgorithmE0EEyLj320ELj3ELj320ELj100EEvPKT0_PS4_
	.p2align	8
	.type	_Z6kernelI9histogramILN6hipcub23BlockHistogramAlgorithmE0EEyLj320ELj3ELj320ELj100EEvPKT0_PS4_,@function
_Z6kernelI9histogramILN6hipcub23BlockHistogramAlgorithmE0EEyLj320ELj3ELj320ELj100EEvPKT0_PS4_: ; @_Z6kernelI9histogramILN6hipcub23BlockHistogramAlgorithmE0EEyLj320ELj3ELj320ELj100EEvPKT0_PS4_
; %bb.0:
	s_load_dwordx4 s[56:59], s[4:5], 0x0
	s_mulk_i32 s6, 0x140
	v_add_u32_e32 v1, s6, v0
	v_mov_b32_e32 v2, 0
	v_lshl_add_u32 v3, v1, 1, v1
	v_mov_b32_e32 v4, v2
	v_lshlrev_b64 v[4:5], 3, v[3:4]
	s_waitcnt lgkmcnt(0)
	v_mov_b32_e32 v6, s57
	v_add_co_u32_e32 v4, vcc, s56, v4
	v_addc_co_u32_e32 v5, vcc, v6, v5, vcc
	v_mov_b32_e32 v7, v2
	v_add_u32_e32 v6, 1, v3
	v_lshlrev_b64 v[6:7], 3, v[6:7]
	v_mov_b32_e32 v8, s57
	v_add_co_u32_e32 v10, vcc, s56, v6
	v_addc_co_u32_e32 v11, vcc, v8, v7, vcc
	global_load_dwordx2 v[8:9], v[4:5], off
	global_load_dwordx2 v[6:7], v[10:11], off
	v_mov_b32_e32 v4, v2
	v_add_u32_e32 v3, 2, v3
	v_lshlrev_b64 v[3:4], 3, v[3:4]
	v_mov_b32_e32 v5, s57
	v_add_co_u32_e32 v3, vcc, s56, v3
	v_addc_co_u32_e32 v4, vcc, v5, v4, vcc
	global_load_dwordx2 v[4:5], v[3:4], off
	s_movk_i32 s0, 0x140
	v_cmp_gt_u32_e32 vcc, s0, v0
	v_lshlrev_b32_e32 v0, 3, v0
	s_movk_i32 s33, 0x64
	s_waitcnt vmcnt(2)
	v_lshlrev_b32_e32 v3, 30, v8
	v_cmp_gt_i64_e64 s[0:1], 0, v[2:3]
	v_not_b32_e32 v10, v3
	v_lshlrev_b32_e32 v3, 29, v8
	v_cmp_gt_i64_e64 s[2:3], 0, v[2:3]
	v_not_b32_e32 v11, v3
	;; [unrolled: 3-line block ×8, first 2 shown]
	s_waitcnt vmcnt(1)
	v_lshlrev_b32_e32 v3, 30, v6
	v_cmp_gt_i64_e64 s[16:17], 0, v[2:3]
	v_not_b32_e32 v18, v3
	v_lshlrev_b32_e32 v3, 29, v6
	v_cmp_gt_i64_e64 s[18:19], 0, v[2:3]
	v_not_b32_e32 v19, v3
	;; [unrolled: 3-line block ×8, first 2 shown]
	s_waitcnt vmcnt(0)
	v_lshlrev_b32_e32 v3, 30, v4
	v_cmp_gt_i64_e64 s[34:35], 0, v[2:3]
	v_not_b32_e32 v26, v3
	v_lshlrev_b32_e32 v3, 29, v4
	v_cmp_gt_i64_e64 s[36:37], 0, v[2:3]
	v_not_b32_e32 v27, v3
	;; [unrolled: 3-line block ×4, first 2 shown]
	v_lshlrev_b32_e32 v3, 26, v4
	v_and_b32_e32 v31, 1, v8
	v_cmp_gt_i64_e64 s[42:43], 0, v[2:3]
	v_not_b32_e32 v30, v3
	v_lshlrev_b32_e32 v3, 25, v4
	v_cmp_gt_i64_e64 s[44:45], 0, v[2:3]
	v_not_b32_e32 v32, v3
	v_lshlrev_b32_e32 v3, 24, v4
	v_cmp_eq_u32_e64 s[48:49], 1, v31
	v_add_co_u32_e64 v31, s[56:57], -1, v31
	v_and_b32_e32 v41, 1, v6
	v_and_b32_e32 v51, 1, v4
	v_lshlrev_b32_e32 v9, 3, v4
	v_cmp_gt_i64_e64 s[46:47], 0, v[2:3]
	v_not_b32_e32 v33, v3
	v_lshlrev_b32_e32 v3, 23, v4
	v_ashrrev_i32_e32 v4, 31, v10
	v_ashrrev_i32_e32 v10, 31, v13
	;; [unrolled: 1-line block ×8, first 2 shown]
	v_addc_co_u32_e64 v32, s[56:57], 0, -1, s[56:57]
	v_cmp_eq_u32_e64 s[50:51], 1, v41
	v_add_co_u32_e64 v41, s[56:57], -1, v41
	v_cmp_gt_i64_e64 s[54:55], 0, v[2:3]
	v_not_b32_e32 v3, v3
	v_addc_co_u32_e64 v42, s[56:57], 0, -1, s[56:57]
	v_lshlrev_b32_e32 v5, 3, v8
	v_lshlrev_b32_e32 v7, 3, v6
	v_ashrrev_i32_e32 v6, 31, v11
	v_ashrrev_i32_e32 v8, 31, v12
	v_ashrrev_i32_e32 v11, 31, v14
	v_ashrrev_i32_e32 v12, 31, v15
	v_ashrrev_i32_e32 v14, 31, v17
	v_ashrrev_i32_e32 v15, 31, v18
	v_ashrrev_i32_e32 v17, 31, v20
	v_ashrrev_i32_e32 v18, 31, v21
	v_ashrrev_i32_e32 v20, 31, v23
	v_ashrrev_i32_e32 v21, 31, v24
	v_cmp_eq_u32_e64 s[52:53], 1, v51
	v_ashrrev_i32_e32 v23, 31, v26
	v_ashrrev_i32_e32 v24, 31, v27
	;; [unrolled: 1-line block ×6, first 2 shown]
	v_add_co_u32_e64 v51, s[56:57], -1, v51
	v_mov_b32_e32 v33, v4
	v_mov_b32_e32 v34, v6
	;; [unrolled: 1-line block ×16, first 2 shown]
	v_addc_co_u32_e64 v52, s[56:57], 0, -1, s[56:57]
	v_mov_b32_e32 v53, v23
	v_mov_b32_e32 v54, v24
	;; [unrolled: 1-line block ×8, first 2 shown]
	s_branch .LBB26_2
.LBB26_1:                               ;   in Loop: Header=BB26_2 Depth=1
	s_or_b64 exec, exec, s[60:61]
	s_add_i32 s33, s33, -1
	s_cmp_lg_u32 s33, 0
	s_waitcnt lgkmcnt(0)
	s_barrier
	s_cbranch_scc0 .LBB26_10
.LBB26_2:                               ; =>This Inner Loop Header: Depth=1
	s_and_saveexec_b64 s[56:57], vcc
; %bb.3:                                ;   in Loop: Header=BB26_2 Depth=1
	v_mov_b32_e32 v3, v2
	ds_write_b64 v0, v[2:3]
; %bb.4:                                ;   in Loop: Header=BB26_2 Depth=1
	s_or_b64 exec, exec, s[56:57]
	v_cndmask_b32_e64 v3, 0, 1, s[48:49]
	v_cmp_ne_u32_e64 s[56:57], 0, v3
	v_cndmask_b32_e64 v62, 0, 1, s[0:1]
	v_xor_b32_e32 v3, s57, v32
	v_xor_b32_e32 v61, s56, v31
	v_cmp_ne_u32_e64 s[56:57], 0, v62
	v_and_b32_e32 v3, exec_hi, v3
	v_xor_b32_e32 v62, s57, v33
	v_and_b32_e32 v3, v3, v62
	v_cndmask_b32_e64 v62, 0, 1, s[2:3]
	v_xor_b32_e32 v63, s56, v4
	v_cmp_ne_u32_e64 s[56:57], 0, v62
	v_xor_b32_e32 v62, s57, v34
	v_and_b32_e32 v61, exec_lo, v61
	v_and_b32_e32 v3, v3, v62
	v_cndmask_b32_e64 v62, 0, 1, s[4:5]
	v_and_b32_e32 v61, v61, v63
	v_xor_b32_e32 v63, s56, v6
	v_cmp_ne_u32_e64 s[56:57], 0, v62
	v_xor_b32_e32 v62, s57, v35
	v_and_b32_e32 v3, v3, v62
	v_cndmask_b32_e64 v62, 0, 1, s[6:7]
	v_and_b32_e32 v61, v61, v63
	v_xor_b32_e32 v63, s56, v8
	v_cmp_ne_u32_e64 s[56:57], 0, v62
	v_xor_b32_e32 v62, s57, v36
	;; [unrolled: 6-line block ×5, first 2 shown]
	v_and_b32_e32 v3, v3, v62
	v_cndmask_b32_e64 v62, 0, 1, s[14:15]
	v_and_b32_e32 v61, v61, v63
	v_xor_b32_e32 v63, s56, v13
	v_cmp_ne_u32_e64 s[56:57], 0, v62
	v_and_b32_e32 v61, v61, v63
	v_xor_b32_e32 v63, s56, v14
	v_xor_b32_e32 v62, s57, v40
	v_and_b32_e32 v61, v61, v63
	v_and_b32_e32 v3, v3, v62
	v_mbcnt_lo_u32_b32 v62, v61, 0
	v_mbcnt_hi_u32_b32 v62, v3, v62
	v_cmp_eq_u32_e64 s[56:57], 0, v62
	s_waitcnt lgkmcnt(0)
	s_barrier
	s_and_saveexec_b64 s[60:61], s[56:57]
; %bb.5:                                ;   in Loop: Header=BB26_2 Depth=1
	v_bcnt_u32_b32 v61, v61, 0
	v_bcnt_u32_b32 v61, v3, v61
	v_mov_b32_e32 v62, v2
	ds_add_u64 v5, v[61:62]
; %bb.6:                                ;   in Loop: Header=BB26_2 Depth=1
	s_or_b64 exec, exec, s[60:61]
	v_cndmask_b32_e64 v3, 0, 1, s[50:51]
	v_cmp_ne_u32_e64 s[56:57], 0, v3
	v_cndmask_b32_e64 v62, 0, 1, s[16:17]
	v_xor_b32_e32 v3, s57, v42
	v_xor_b32_e32 v61, s56, v41
	v_cmp_ne_u32_e64 s[56:57], 0, v62
	v_and_b32_e32 v3, exec_hi, v3
	v_xor_b32_e32 v62, s57, v43
	v_and_b32_e32 v3, v3, v62
	v_cndmask_b32_e64 v62, 0, 1, s[18:19]
	v_xor_b32_e32 v63, s56, v15
	v_cmp_ne_u32_e64 s[56:57], 0, v62
	v_xor_b32_e32 v62, s57, v44
	v_and_b32_e32 v61, exec_lo, v61
	v_and_b32_e32 v3, v3, v62
	v_cndmask_b32_e64 v62, 0, 1, s[20:21]
	v_and_b32_e32 v61, v61, v63
	v_xor_b32_e32 v63, s56, v16
	v_cmp_ne_u32_e64 s[56:57], 0, v62
	v_xor_b32_e32 v62, s57, v45
	v_and_b32_e32 v3, v3, v62
	v_cndmask_b32_e64 v62, 0, 1, s[22:23]
	v_and_b32_e32 v61, v61, v63
	v_xor_b32_e32 v63, s56, v17
	v_cmp_ne_u32_e64 s[56:57], 0, v62
	v_xor_b32_e32 v62, s57, v46
	;; [unrolled: 6-line block ×5, first 2 shown]
	v_and_b32_e32 v3, v3, v62
	v_cndmask_b32_e64 v62, 0, 1, s[30:31]
	v_and_b32_e32 v61, v61, v63
	v_xor_b32_e32 v63, s56, v21
	v_cmp_ne_u32_e64 s[56:57], 0, v62
	v_and_b32_e32 v61, v61, v63
	v_xor_b32_e32 v63, s56, v22
	v_xor_b32_e32 v62, s57, v50
	v_and_b32_e32 v61, v61, v63
	v_and_b32_e32 v3, v3, v62
	v_mbcnt_lo_u32_b32 v62, v61, 0
	v_mbcnt_hi_u32_b32 v62, v3, v62
	v_cmp_eq_u32_e64 s[56:57], 0, v62
	s_and_saveexec_b64 s[60:61], s[56:57]
; %bb.7:                                ;   in Loop: Header=BB26_2 Depth=1
	v_bcnt_u32_b32 v61, v61, 0
	v_bcnt_u32_b32 v61, v3, v61
	v_mov_b32_e32 v62, v2
	ds_add_u64 v7, v[61:62]
; %bb.8:                                ;   in Loop: Header=BB26_2 Depth=1
	s_or_b64 exec, exec, s[60:61]
	v_cndmask_b32_e64 v3, 0, 1, s[52:53]
	v_cmp_ne_u32_e64 s[56:57], 0, v3
	v_cndmask_b32_e64 v62, 0, 1, s[34:35]
	v_xor_b32_e32 v3, s57, v52
	v_xor_b32_e32 v61, s56, v51
	v_cmp_ne_u32_e64 s[56:57], 0, v62
	v_and_b32_e32 v3, exec_hi, v3
	v_xor_b32_e32 v62, s57, v53
	v_and_b32_e32 v3, v3, v62
	v_cndmask_b32_e64 v62, 0, 1, s[36:37]
	v_xor_b32_e32 v63, s56, v23
	v_cmp_ne_u32_e64 s[56:57], 0, v62
	v_xor_b32_e32 v62, s57, v54
	v_and_b32_e32 v61, exec_lo, v61
	v_and_b32_e32 v3, v3, v62
	v_cndmask_b32_e64 v62, 0, 1, s[38:39]
	v_and_b32_e32 v61, v61, v63
	v_xor_b32_e32 v63, s56, v24
	v_cmp_ne_u32_e64 s[56:57], 0, v62
	v_xor_b32_e32 v62, s57, v55
	v_and_b32_e32 v3, v3, v62
	v_cndmask_b32_e64 v62, 0, 1, s[40:41]
	v_and_b32_e32 v61, v61, v63
	v_xor_b32_e32 v63, s56, v25
	v_cmp_ne_u32_e64 s[56:57], 0, v62
	v_xor_b32_e32 v62, s57, v56
	;; [unrolled: 6-line block ×5, first 2 shown]
	v_and_b32_e32 v3, v3, v62
	v_cndmask_b32_e64 v62, 0, 1, s[54:55]
	v_and_b32_e32 v61, v61, v63
	v_xor_b32_e32 v63, s56, v29
	v_cmp_ne_u32_e64 s[56:57], 0, v62
	v_and_b32_e32 v61, v61, v63
	v_xor_b32_e32 v63, s56, v30
	v_xor_b32_e32 v62, s57, v60
	v_and_b32_e32 v61, v61, v63
	v_and_b32_e32 v3, v3, v62
	v_mbcnt_lo_u32_b32 v62, v61, 0
	v_mbcnt_hi_u32_b32 v62, v3, v62
	v_cmp_eq_u32_e64 s[56:57], 0, v62
	s_and_saveexec_b64 s[60:61], s[56:57]
	s_cbranch_execz .LBB26_1
; %bb.9:                                ;   in Loop: Header=BB26_2 Depth=1
	v_bcnt_u32_b32 v61, v61, 0
	v_bcnt_u32_b32 v61, v3, v61
	v_mov_b32_e32 v62, v2
	ds_add_u64 v9, v[61:62]
	s_branch .LBB26_1
.LBB26_10:
	s_and_saveexec_b64 s[0:1], vcc
	s_cbranch_execz .LBB26_12
; %bb.11:
	v_mov_b32_e32 v2, 0
	ds_read_b64 v[3:4], v0
	v_lshlrev_b64 v[1:2], 3, v[1:2]
	v_mov_b32_e32 v5, s59
	v_add_co_u32_e32 v0, vcc, s58, v1
	v_addc_co_u32_e32 v1, vcc, v5, v2, vcc
	s_waitcnt lgkmcnt(0)
	global_store_dwordx2 v[0:1], v[3:4], off
.LBB26_12:
	s_endpgm
	.section	.rodata,"a",@progbits
	.p2align	6, 0x0
	.amdhsa_kernel _Z6kernelI9histogramILN6hipcub23BlockHistogramAlgorithmE0EEyLj320ELj3ELj320ELj100EEvPKT0_PS4_
		.amdhsa_group_segment_fixed_size 2560
		.amdhsa_private_segment_fixed_size 0
		.amdhsa_kernarg_size 16
		.amdhsa_user_sgpr_count 6
		.amdhsa_user_sgpr_private_segment_buffer 1
		.amdhsa_user_sgpr_dispatch_ptr 0
		.amdhsa_user_sgpr_queue_ptr 0
		.amdhsa_user_sgpr_kernarg_segment_ptr 1
		.amdhsa_user_sgpr_dispatch_id 0
		.amdhsa_user_sgpr_flat_scratch_init 0
		.amdhsa_user_sgpr_private_segment_size 0
		.amdhsa_uses_dynamic_stack 0
		.amdhsa_system_sgpr_private_segment_wavefront_offset 0
		.amdhsa_system_sgpr_workgroup_id_x 1
		.amdhsa_system_sgpr_workgroup_id_y 0
		.amdhsa_system_sgpr_workgroup_id_z 0
		.amdhsa_system_sgpr_workgroup_info 0
		.amdhsa_system_vgpr_workitem_id 0
		.amdhsa_next_free_vgpr 64
		.amdhsa_next_free_sgpr 62
		.amdhsa_reserve_vcc 1
		.amdhsa_reserve_flat_scratch 0
		.amdhsa_float_round_mode_32 0
		.amdhsa_float_round_mode_16_64 0
		.amdhsa_float_denorm_mode_32 3
		.amdhsa_float_denorm_mode_16_64 3
		.amdhsa_dx10_clamp 1
		.amdhsa_ieee_mode 1
		.amdhsa_fp16_overflow 0
		.amdhsa_exception_fp_ieee_invalid_op 0
		.amdhsa_exception_fp_denorm_src 0
		.amdhsa_exception_fp_ieee_div_zero 0
		.amdhsa_exception_fp_ieee_overflow 0
		.amdhsa_exception_fp_ieee_underflow 0
		.amdhsa_exception_fp_ieee_inexact 0
		.amdhsa_exception_int_div_zero 0
	.end_amdhsa_kernel
	.section	.text._Z6kernelI9histogramILN6hipcub23BlockHistogramAlgorithmE0EEyLj320ELj3ELj320ELj100EEvPKT0_PS4_,"axG",@progbits,_Z6kernelI9histogramILN6hipcub23BlockHistogramAlgorithmE0EEyLj320ELj3ELj320ELj100EEvPKT0_PS4_,comdat
.Lfunc_end26:
	.size	_Z6kernelI9histogramILN6hipcub23BlockHistogramAlgorithmE0EEyLj320ELj3ELj320ELj100EEvPKT0_PS4_, .Lfunc_end26-_Z6kernelI9histogramILN6hipcub23BlockHistogramAlgorithmE0EEyLj320ELj3ELj320ELj100EEvPKT0_PS4_
                                        ; -- End function
	.set _Z6kernelI9histogramILN6hipcub23BlockHistogramAlgorithmE0EEyLj320ELj3ELj320ELj100EEvPKT0_PS4_.num_vgpr, 64
	.set _Z6kernelI9histogramILN6hipcub23BlockHistogramAlgorithmE0EEyLj320ELj3ELj320ELj100EEvPKT0_PS4_.num_agpr, 0
	.set _Z6kernelI9histogramILN6hipcub23BlockHistogramAlgorithmE0EEyLj320ELj3ELj320ELj100EEvPKT0_PS4_.numbered_sgpr, 62
	.set _Z6kernelI9histogramILN6hipcub23BlockHistogramAlgorithmE0EEyLj320ELj3ELj320ELj100EEvPKT0_PS4_.num_named_barrier, 0
	.set _Z6kernelI9histogramILN6hipcub23BlockHistogramAlgorithmE0EEyLj320ELj3ELj320ELj100EEvPKT0_PS4_.private_seg_size, 0
	.set _Z6kernelI9histogramILN6hipcub23BlockHistogramAlgorithmE0EEyLj320ELj3ELj320ELj100EEvPKT0_PS4_.uses_vcc, 1
	.set _Z6kernelI9histogramILN6hipcub23BlockHistogramAlgorithmE0EEyLj320ELj3ELj320ELj100EEvPKT0_PS4_.uses_flat_scratch, 0
	.set _Z6kernelI9histogramILN6hipcub23BlockHistogramAlgorithmE0EEyLj320ELj3ELj320ELj100EEvPKT0_PS4_.has_dyn_sized_stack, 0
	.set _Z6kernelI9histogramILN6hipcub23BlockHistogramAlgorithmE0EEyLj320ELj3ELj320ELj100EEvPKT0_PS4_.has_recursion, 0
	.set _Z6kernelI9histogramILN6hipcub23BlockHistogramAlgorithmE0EEyLj320ELj3ELj320ELj100EEvPKT0_PS4_.has_indirect_call, 0
	.section	.AMDGPU.csdata,"",@progbits
; Kernel info:
; codeLenInByte = 1996
; TotalNumSgprs: 66
; NumVgprs: 64
; ScratchSize: 0
; MemoryBound: 0
; FloatMode: 240
; IeeeMode: 1
; LDSByteSize: 2560 bytes/workgroup (compile time only)
; SGPRBlocks: 8
; VGPRBlocks: 15
; NumSGPRsForWavesPerEU: 66
; NumVGPRsForWavesPerEU: 64
; Occupancy: 4
; WaveLimiterHint : 0
; COMPUTE_PGM_RSRC2:SCRATCH_EN: 0
; COMPUTE_PGM_RSRC2:USER_SGPR: 6
; COMPUTE_PGM_RSRC2:TRAP_HANDLER: 0
; COMPUTE_PGM_RSRC2:TGID_X_EN: 1
; COMPUTE_PGM_RSRC2:TGID_Y_EN: 0
; COMPUTE_PGM_RSRC2:TGID_Z_EN: 0
; COMPUTE_PGM_RSRC2:TIDIG_COMP_CNT: 0
	.section	.text._Z6kernelI9histogramILN6hipcub23BlockHistogramAlgorithmE0EEyLj320ELj4ELj320ELj100EEvPKT0_PS4_,"axG",@progbits,_Z6kernelI9histogramILN6hipcub23BlockHistogramAlgorithmE0EEyLj320ELj4ELj320ELj100EEvPKT0_PS4_,comdat
	.protected	_Z6kernelI9histogramILN6hipcub23BlockHistogramAlgorithmE0EEyLj320ELj4ELj320ELj100EEvPKT0_PS4_ ; -- Begin function _Z6kernelI9histogramILN6hipcub23BlockHistogramAlgorithmE0EEyLj320ELj4ELj320ELj100EEvPKT0_PS4_
	.globl	_Z6kernelI9histogramILN6hipcub23BlockHistogramAlgorithmE0EEyLj320ELj4ELj320ELj100EEvPKT0_PS4_
	.p2align	8
	.type	_Z6kernelI9histogramILN6hipcub23BlockHistogramAlgorithmE0EEyLj320ELj4ELj320ELj100EEvPKT0_PS4_,@function
_Z6kernelI9histogramILN6hipcub23BlockHistogramAlgorithmE0EEyLj320ELj4ELj320ELj100EEvPKT0_PS4_: ; @_Z6kernelI9histogramILN6hipcub23BlockHistogramAlgorithmE0EEyLj320ELj4ELj320ELj100EEvPKT0_PS4_
; %bb.0:
	s_load_dwordx4 s[76:79], s[4:5], 0x0
	s_mulk_i32 s6, 0x140
	v_add_u32_e32 v5, s6, v0
	v_mov_b32_e32 v6, 0
	v_lshlrev_b32_e32 v1, 2, v5
	v_mov_b32_e32 v2, v6
	v_lshlrev_b64 v[1:2], 3, v[1:2]
	s_waitcnt lgkmcnt(0)
	v_mov_b32_e32 v3, s77
	v_add_co_u32_e32 v7, vcc, s76, v1
	v_addc_co_u32_e32 v8, vcc, v3, v2, vcc
	global_load_dwordx4 v[1:4], v[7:8], off
	global_load_dwordx4 v[10:13], v[7:8], off offset:16
	s_movk_i32 s33, 0x140
	v_cmp_gt_u32_e64 s[62:63], s33, v0
	v_lshlrev_b32_e32 v0, 3, v0
	s_movk_i32 s33, 0x64
	s_waitcnt vmcnt(1)
	v_lshlrev_b32_e32 v7, 30, v1
	v_cmp_gt_i64_e32 vcc, 0, v[6:7]
	s_waitcnt vmcnt(0)
	v_not_b32_e32 v11, v7
	v_lshlrev_b32_e32 v7, 29, v1
	v_cmp_gt_i64_e64 s[0:1], 0, v[6:7]
	v_not_b32_e32 v13, v7
	v_lshlrev_b32_e32 v7, 28, v1
	v_cmp_gt_i64_e64 s[2:3], 0, v[6:7]
	;; [unrolled: 3-line block ×26, first 2 shown]
	v_not_b32_e32 v38, v7
	v_lshlrev_b32_e32 v7, 27, v12
	v_and_b32_e32 v50, 1, v3
	v_cmp_gt_i64_e64 s[54:55], 0, v[6:7]
	v_not_b32_e32 v40, v7
	v_lshlrev_b32_e32 v7, 26, v12
	v_and_b32_e32 v39, 1, v1
	v_cmp_gt_i64_e64 s[56:57], 0, v[6:7]
	v_not_b32_e32 v41, v7
	v_lshlrev_b32_e32 v7, 25, v12
	v_cmp_eq_u32_e64 s[66:67], 1, v50
	v_add_co_u32_e64 v50, s[74:75], -1, v50
	v_and_b32_e32 v60, 1, v10
	v_cmp_gt_i64_e64 s[58:59], 0, v[6:7]
	v_not_b32_e32 v42, v7
	v_lshlrev_b32_e32 v7, 24, v12
	v_cmp_eq_u32_e64 s[64:65], 1, v39
	v_add_co_u32_e64 v39, s[72:73], -1, v39
	v_addc_co_u32_e64 v51, s[74:75], 0, -1, s[74:75]
	v_lshlrev_b32_e32 v2, 3, v1
	v_cmp_gt_i64_e64 s[60:61], 0, v[6:7]
	v_not_b32_e32 v43, v7
	v_lshlrev_b32_e32 v7, 23, v12
	v_ashrrev_i32_e32 v1, 31, v11
	v_ashrrev_i32_e32 v11, 31, v15
	;; [unrolled: 1-line block ×5, first 2 shown]
	v_cmp_eq_u32_e64 s[68:69], 1, v60
	v_ashrrev_i32_e32 v27, 31, v31
	v_ashrrev_i32_e32 v31, 31, v35
	;; [unrolled: 1-line block ×3, first 2 shown]
	v_addc_co_u32_e64 v40, s[72:73], 0, -1, s[72:73]
	v_add_co_u32_e64 v60, s[74:75], -1, v60
	v_and_b32_e32 v70, 1, v12
	v_cmp_gt_i64_e64 s[72:73], 0, v[6:7]
	v_not_b32_e32 v7, v7
	v_addc_co_u32_e64 v61, s[74:75], 0, -1, s[74:75]
	v_lshlrev_b32_e32 v4, 3, v3
	v_lshlrev_b32_e32 v8, 3, v10
	;; [unrolled: 1-line block ×3, first 2 shown]
	v_ashrrev_i32_e32 v3, 31, v13
	v_ashrrev_i32_e32 v10, 31, v14
	;; [unrolled: 1-line block ×17, first 2 shown]
	v_cmp_eq_u32_e64 s[70:71], 1, v70
	v_ashrrev_i32_e32 v32, 31, v36
	v_ashrrev_i32_e32 v33, 31, v37
	;; [unrolled: 1-line block ×7, first 2 shown]
	v_add_co_u32_e64 v70, s[74:75], -1, v70
	v_mov_b32_e32 v42, v1
	v_mov_b32_e32 v43, v3
	;; [unrolled: 1-line block ×24, first 2 shown]
	v_addc_co_u32_e64 v71, s[74:75], 0, -1, s[74:75]
	v_mov_b32_e32 v72, v32
	v_mov_b32_e32 v73, v33
	;; [unrolled: 1-line block ×8, first 2 shown]
	s_branch .LBB27_2
.LBB27_1:                               ;   in Loop: Header=BB27_2 Depth=1
	s_or_b64 exec, exec, s[76:77]
	s_add_i32 s33, s33, -1
	s_cmp_lg_u32 s33, 0
	s_waitcnt lgkmcnt(0)
	s_barrier
	s_cbranch_scc0 .LBB27_12
.LBB27_2:                               ; =>This Inner Loop Header: Depth=1
	s_and_saveexec_b64 s[74:75], s[62:63]
; %bb.3:                                ;   in Loop: Header=BB27_2 Depth=1
	v_mov_b32_e32 v7, v6
	ds_write_b64 v0, v[6:7]
; %bb.4:                                ;   in Loop: Header=BB27_2 Depth=1
	s_or_b64 exec, exec, s[74:75]
	v_cndmask_b32_e64 v7, 0, 1, s[64:65]
	v_cmp_ne_u32_e64 s[74:75], 0, v7
	v_cndmask_b32_e64 v81, 0, 1, vcc
	v_xor_b32_e32 v7, s75, v40
	v_xor_b32_e32 v80, s74, v39
	v_cmp_ne_u32_e64 s[74:75], 0, v81
	v_and_b32_e32 v7, exec_hi, v7
	v_xor_b32_e32 v81, s75, v42
	v_and_b32_e32 v7, v7, v81
	v_cndmask_b32_e64 v81, 0, 1, s[0:1]
	v_xor_b32_e32 v82, s74, v1
	v_cmp_ne_u32_e64 s[74:75], 0, v81
	v_xor_b32_e32 v81, s75, v43
	v_and_b32_e32 v80, exec_lo, v80
	v_and_b32_e32 v7, v7, v81
	v_cndmask_b32_e64 v81, 0, 1, s[2:3]
	v_and_b32_e32 v80, v80, v82
	v_xor_b32_e32 v82, s74, v3
	v_cmp_ne_u32_e64 s[74:75], 0, v81
	v_xor_b32_e32 v81, s75, v44
	v_and_b32_e32 v7, v7, v81
	v_cndmask_b32_e64 v81, 0, 1, s[4:5]
	v_and_b32_e32 v80, v80, v82
	v_xor_b32_e32 v82, s74, v10
	v_cmp_ne_u32_e64 s[74:75], 0, v81
	v_xor_b32_e32 v81, s75, v45
	;; [unrolled: 6-line block ×5, first 2 shown]
	v_and_b32_e32 v7, v7, v81
	v_cndmask_b32_e64 v81, 0, 1, s[12:13]
	v_and_b32_e32 v80, v80, v82
	v_xor_b32_e32 v82, s74, v14
	v_cmp_ne_u32_e64 s[74:75], 0, v81
	v_and_b32_e32 v80, v80, v82
	v_xor_b32_e32 v82, s74, v15
	v_xor_b32_e32 v81, s75, v49
	v_and_b32_e32 v80, v80, v82
	v_and_b32_e32 v7, v7, v81
	v_mbcnt_lo_u32_b32 v81, v80, 0
	v_mbcnt_hi_u32_b32 v81, v7, v81
	v_cmp_eq_u32_e64 s[74:75], 0, v81
	s_waitcnt lgkmcnt(0)
	s_barrier
	s_and_saveexec_b64 s[76:77], s[74:75]
; %bb.5:                                ;   in Loop: Header=BB27_2 Depth=1
	v_bcnt_u32_b32 v80, v80, 0
	v_bcnt_u32_b32 v80, v7, v80
	v_mov_b32_e32 v81, v6
	ds_add_u64 v2, v[80:81]
; %bb.6:                                ;   in Loop: Header=BB27_2 Depth=1
	s_or_b64 exec, exec, s[76:77]
	v_cndmask_b32_e64 v7, 0, 1, s[66:67]
	v_cmp_ne_u32_e64 s[74:75], 0, v7
	v_cndmask_b32_e64 v81, 0, 1, s[14:15]
	v_xor_b32_e32 v7, s75, v51
	v_xor_b32_e32 v80, s74, v50
	v_cmp_ne_u32_e64 s[74:75], 0, v81
	v_and_b32_e32 v7, exec_hi, v7
	v_xor_b32_e32 v81, s75, v52
	v_and_b32_e32 v7, v7, v81
	v_cndmask_b32_e64 v81, 0, 1, s[16:17]
	v_xor_b32_e32 v82, s74, v16
	v_cmp_ne_u32_e64 s[74:75], 0, v81
	v_xor_b32_e32 v81, s75, v53
	v_and_b32_e32 v80, exec_lo, v80
	v_and_b32_e32 v7, v7, v81
	v_cndmask_b32_e64 v81, 0, 1, s[18:19]
	v_and_b32_e32 v80, v80, v82
	v_xor_b32_e32 v82, s74, v17
	v_cmp_ne_u32_e64 s[74:75], 0, v81
	v_xor_b32_e32 v81, s75, v54
	v_and_b32_e32 v7, v7, v81
	v_cndmask_b32_e64 v81, 0, 1, s[20:21]
	v_and_b32_e32 v80, v80, v82
	v_xor_b32_e32 v82, s74, v18
	v_cmp_ne_u32_e64 s[74:75], 0, v81
	v_xor_b32_e32 v81, s75, v55
	;; [unrolled: 6-line block ×5, first 2 shown]
	v_and_b32_e32 v7, v7, v81
	v_cndmask_b32_e64 v81, 0, 1, s[28:29]
	v_and_b32_e32 v80, v80, v82
	v_xor_b32_e32 v82, s74, v22
	v_cmp_ne_u32_e64 s[74:75], 0, v81
	v_and_b32_e32 v80, v80, v82
	v_xor_b32_e32 v82, s74, v23
	v_xor_b32_e32 v81, s75, v59
	v_and_b32_e32 v80, v80, v82
	v_and_b32_e32 v7, v7, v81
	v_mbcnt_lo_u32_b32 v81, v80, 0
	v_mbcnt_hi_u32_b32 v81, v7, v81
	v_cmp_eq_u32_e64 s[74:75], 0, v81
	s_and_saveexec_b64 s[76:77], s[74:75]
; %bb.7:                                ;   in Loop: Header=BB27_2 Depth=1
	v_bcnt_u32_b32 v80, v80, 0
	v_bcnt_u32_b32 v80, v7, v80
	v_mov_b32_e32 v81, v6
	ds_add_u64 v4, v[80:81]
; %bb.8:                                ;   in Loop: Header=BB27_2 Depth=1
	s_or_b64 exec, exec, s[76:77]
	v_cndmask_b32_e64 v7, 0, 1, s[68:69]
	v_cmp_ne_u32_e64 s[74:75], 0, v7
	v_cndmask_b32_e64 v81, 0, 1, s[30:31]
	v_xor_b32_e32 v7, s75, v61
	v_xor_b32_e32 v80, s74, v60
	v_cmp_ne_u32_e64 s[74:75], 0, v81
	v_and_b32_e32 v7, exec_hi, v7
	v_xor_b32_e32 v81, s75, v62
	v_and_b32_e32 v7, v7, v81
	v_cndmask_b32_e64 v81, 0, 1, s[34:35]
	v_xor_b32_e32 v82, s74, v24
	v_cmp_ne_u32_e64 s[74:75], 0, v81
	v_xor_b32_e32 v81, s75, v63
	v_and_b32_e32 v80, exec_lo, v80
	v_and_b32_e32 v7, v7, v81
	v_cndmask_b32_e64 v81, 0, 1, s[36:37]
	v_and_b32_e32 v80, v80, v82
	v_xor_b32_e32 v82, s74, v25
	v_cmp_ne_u32_e64 s[74:75], 0, v81
	v_xor_b32_e32 v81, s75, v64
	v_and_b32_e32 v7, v7, v81
	v_cndmask_b32_e64 v81, 0, 1, s[38:39]
	v_and_b32_e32 v80, v80, v82
	v_xor_b32_e32 v82, s74, v26
	v_cmp_ne_u32_e64 s[74:75], 0, v81
	v_xor_b32_e32 v81, s75, v65
	;; [unrolled: 6-line block ×5, first 2 shown]
	v_and_b32_e32 v7, v7, v81
	v_cndmask_b32_e64 v81, 0, 1, s[46:47]
	v_and_b32_e32 v80, v80, v82
	v_xor_b32_e32 v82, s74, v30
	v_cmp_ne_u32_e64 s[74:75], 0, v81
	v_and_b32_e32 v80, v80, v82
	v_xor_b32_e32 v82, s74, v31
	v_xor_b32_e32 v81, s75, v69
	v_and_b32_e32 v80, v80, v82
	v_and_b32_e32 v7, v7, v81
	v_mbcnt_lo_u32_b32 v81, v80, 0
	v_mbcnt_hi_u32_b32 v81, v7, v81
	v_cmp_eq_u32_e64 s[74:75], 0, v81
	s_and_saveexec_b64 s[76:77], s[74:75]
; %bb.9:                                ;   in Loop: Header=BB27_2 Depth=1
	v_bcnt_u32_b32 v80, v80, 0
	v_bcnt_u32_b32 v80, v7, v80
	v_mov_b32_e32 v81, v6
	ds_add_u64 v8, v[80:81]
; %bb.10:                               ;   in Loop: Header=BB27_2 Depth=1
	s_or_b64 exec, exec, s[76:77]
	v_cndmask_b32_e64 v7, 0, 1, s[70:71]
	v_cmp_ne_u32_e64 s[74:75], 0, v7
	v_cndmask_b32_e64 v81, 0, 1, s[48:49]
	v_xor_b32_e32 v7, s75, v71
	v_xor_b32_e32 v80, s74, v70
	v_cmp_ne_u32_e64 s[74:75], 0, v81
	v_and_b32_e32 v7, exec_hi, v7
	v_xor_b32_e32 v81, s75, v72
	v_and_b32_e32 v7, v7, v81
	v_cndmask_b32_e64 v81, 0, 1, s[50:51]
	v_xor_b32_e32 v82, s74, v32
	v_cmp_ne_u32_e64 s[74:75], 0, v81
	v_xor_b32_e32 v81, s75, v73
	v_and_b32_e32 v80, exec_lo, v80
	v_and_b32_e32 v7, v7, v81
	v_cndmask_b32_e64 v81, 0, 1, s[52:53]
	v_and_b32_e32 v80, v80, v82
	v_xor_b32_e32 v82, s74, v33
	v_cmp_ne_u32_e64 s[74:75], 0, v81
	v_xor_b32_e32 v81, s75, v74
	v_and_b32_e32 v7, v7, v81
	v_cndmask_b32_e64 v81, 0, 1, s[54:55]
	v_and_b32_e32 v80, v80, v82
	v_xor_b32_e32 v82, s74, v34
	v_cmp_ne_u32_e64 s[74:75], 0, v81
	v_xor_b32_e32 v81, s75, v75
	;; [unrolled: 6-line block ×5, first 2 shown]
	v_and_b32_e32 v7, v7, v81
	v_cndmask_b32_e64 v81, 0, 1, s[72:73]
	v_and_b32_e32 v80, v80, v82
	v_xor_b32_e32 v82, s74, v38
	v_cmp_ne_u32_e64 s[74:75], 0, v81
	v_and_b32_e32 v80, v80, v82
	v_xor_b32_e32 v82, s74, v41
	v_xor_b32_e32 v81, s75, v79
	v_and_b32_e32 v80, v80, v82
	v_and_b32_e32 v7, v7, v81
	v_mbcnt_lo_u32_b32 v81, v80, 0
	v_mbcnt_hi_u32_b32 v81, v7, v81
	v_cmp_eq_u32_e64 s[74:75], 0, v81
	s_and_saveexec_b64 s[76:77], s[74:75]
	s_cbranch_execz .LBB27_1
; %bb.11:                               ;   in Loop: Header=BB27_2 Depth=1
	v_bcnt_u32_b32 v80, v80, 0
	v_bcnt_u32_b32 v80, v7, v80
	v_mov_b32_e32 v81, v6
	ds_add_u64 v9, v[80:81]
	s_branch .LBB27_1
.LBB27_12:
	s_and_saveexec_b64 s[0:1], s[62:63]
	s_cbranch_execz .LBB27_14
; %bb.13:
	v_mov_b32_e32 v6, 0
	ds_read_b64 v[3:4], v0
	v_lshlrev_b64 v[1:2], 3, v[5:6]
	v_mov_b32_e32 v5, s79
	v_add_co_u32_e32 v0, vcc, s78, v1
	v_addc_co_u32_e32 v1, vcc, v5, v2, vcc
	s_waitcnt lgkmcnt(0)
	global_store_dwordx2 v[0:1], v[3:4], off
.LBB27_14:
	s_endpgm
	.section	.rodata,"a",@progbits
	.p2align	6, 0x0
	.amdhsa_kernel _Z6kernelI9histogramILN6hipcub23BlockHistogramAlgorithmE0EEyLj320ELj4ELj320ELj100EEvPKT0_PS4_
		.amdhsa_group_segment_fixed_size 2560
		.amdhsa_private_segment_fixed_size 0
		.amdhsa_kernarg_size 16
		.amdhsa_user_sgpr_count 6
		.amdhsa_user_sgpr_private_segment_buffer 1
		.amdhsa_user_sgpr_dispatch_ptr 0
		.amdhsa_user_sgpr_queue_ptr 0
		.amdhsa_user_sgpr_kernarg_segment_ptr 1
		.amdhsa_user_sgpr_dispatch_id 0
		.amdhsa_user_sgpr_flat_scratch_init 0
		.amdhsa_user_sgpr_private_segment_size 0
		.amdhsa_uses_dynamic_stack 0
		.amdhsa_system_sgpr_private_segment_wavefront_offset 0
		.amdhsa_system_sgpr_workgroup_id_x 1
		.amdhsa_system_sgpr_workgroup_id_y 0
		.amdhsa_system_sgpr_workgroup_id_z 0
		.amdhsa_system_sgpr_workgroup_info 0
		.amdhsa_system_vgpr_workitem_id 0
		.amdhsa_next_free_vgpr 83
		.amdhsa_next_free_sgpr 80
		.amdhsa_reserve_vcc 1
		.amdhsa_reserve_flat_scratch 0
		.amdhsa_float_round_mode_32 0
		.amdhsa_float_round_mode_16_64 0
		.amdhsa_float_denorm_mode_32 3
		.amdhsa_float_denorm_mode_16_64 3
		.amdhsa_dx10_clamp 1
		.amdhsa_ieee_mode 1
		.amdhsa_fp16_overflow 0
		.amdhsa_exception_fp_ieee_invalid_op 0
		.amdhsa_exception_fp_denorm_src 0
		.amdhsa_exception_fp_ieee_div_zero 0
		.amdhsa_exception_fp_ieee_overflow 0
		.amdhsa_exception_fp_ieee_underflow 0
		.amdhsa_exception_fp_ieee_inexact 0
		.amdhsa_exception_int_div_zero 0
	.end_amdhsa_kernel
	.section	.text._Z6kernelI9histogramILN6hipcub23BlockHistogramAlgorithmE0EEyLj320ELj4ELj320ELj100EEvPKT0_PS4_,"axG",@progbits,_Z6kernelI9histogramILN6hipcub23BlockHistogramAlgorithmE0EEyLj320ELj4ELj320ELj100EEvPKT0_PS4_,comdat
.Lfunc_end27:
	.size	_Z6kernelI9histogramILN6hipcub23BlockHistogramAlgorithmE0EEyLj320ELj4ELj320ELj100EEvPKT0_PS4_, .Lfunc_end27-_Z6kernelI9histogramILN6hipcub23BlockHistogramAlgorithmE0EEyLj320ELj4ELj320ELj100EEvPKT0_PS4_
                                        ; -- End function
	.set _Z6kernelI9histogramILN6hipcub23BlockHistogramAlgorithmE0EEyLj320ELj4ELj320ELj100EEvPKT0_PS4_.num_vgpr, 83
	.set _Z6kernelI9histogramILN6hipcub23BlockHistogramAlgorithmE0EEyLj320ELj4ELj320ELj100EEvPKT0_PS4_.num_agpr, 0
	.set _Z6kernelI9histogramILN6hipcub23BlockHistogramAlgorithmE0EEyLj320ELj4ELj320ELj100EEvPKT0_PS4_.numbered_sgpr, 80
	.set _Z6kernelI9histogramILN6hipcub23BlockHistogramAlgorithmE0EEyLj320ELj4ELj320ELj100EEvPKT0_PS4_.num_named_barrier, 0
	.set _Z6kernelI9histogramILN6hipcub23BlockHistogramAlgorithmE0EEyLj320ELj4ELj320ELj100EEvPKT0_PS4_.private_seg_size, 0
	.set _Z6kernelI9histogramILN6hipcub23BlockHistogramAlgorithmE0EEyLj320ELj4ELj320ELj100EEvPKT0_PS4_.uses_vcc, 1
	.set _Z6kernelI9histogramILN6hipcub23BlockHistogramAlgorithmE0EEyLj320ELj4ELj320ELj100EEvPKT0_PS4_.uses_flat_scratch, 0
	.set _Z6kernelI9histogramILN6hipcub23BlockHistogramAlgorithmE0EEyLj320ELj4ELj320ELj100EEvPKT0_PS4_.has_dyn_sized_stack, 0
	.set _Z6kernelI9histogramILN6hipcub23BlockHistogramAlgorithmE0EEyLj320ELj4ELj320ELj100EEvPKT0_PS4_.has_recursion, 0
	.set _Z6kernelI9histogramILN6hipcub23BlockHistogramAlgorithmE0EEyLj320ELj4ELj320ELj100EEvPKT0_PS4_.has_indirect_call, 0
	.section	.AMDGPU.csdata,"",@progbits
; Kernel info:
; codeLenInByte = 2496
; TotalNumSgprs: 84
; NumVgprs: 83
; ScratchSize: 0
; MemoryBound: 0
; FloatMode: 240
; IeeeMode: 1
; LDSByteSize: 2560 bytes/workgroup (compile time only)
; SGPRBlocks: 10
; VGPRBlocks: 20
; NumSGPRsForWavesPerEU: 84
; NumVGPRsForWavesPerEU: 83
; Occupancy: 3
; WaveLimiterHint : 0
; COMPUTE_PGM_RSRC2:SCRATCH_EN: 0
; COMPUTE_PGM_RSRC2:USER_SGPR: 6
; COMPUTE_PGM_RSRC2:TRAP_HANDLER: 0
; COMPUTE_PGM_RSRC2:TGID_X_EN: 1
; COMPUTE_PGM_RSRC2:TGID_Y_EN: 0
; COMPUTE_PGM_RSRC2:TGID_Z_EN: 0
; COMPUTE_PGM_RSRC2:TIDIG_COMP_CNT: 0
	.section	.text._Z6kernelI9histogramILN6hipcub23BlockHistogramAlgorithmE0EEyLj320ELj8ELj320ELj100EEvPKT0_PS4_,"axG",@progbits,_Z6kernelI9histogramILN6hipcub23BlockHistogramAlgorithmE0EEyLj320ELj8ELj320ELj100EEvPKT0_PS4_,comdat
	.protected	_Z6kernelI9histogramILN6hipcub23BlockHistogramAlgorithmE0EEyLj320ELj8ELj320ELj100EEvPKT0_PS4_ ; -- Begin function _Z6kernelI9histogramILN6hipcub23BlockHistogramAlgorithmE0EEyLj320ELj8ELj320ELj100EEvPKT0_PS4_
	.globl	_Z6kernelI9histogramILN6hipcub23BlockHistogramAlgorithmE0EEyLj320ELj8ELj320ELj100EEvPKT0_PS4_
	.p2align	8
	.type	_Z6kernelI9histogramILN6hipcub23BlockHistogramAlgorithmE0EEyLj320ELj8ELj320ELj100EEvPKT0_PS4_,@function
_Z6kernelI9histogramILN6hipcub23BlockHistogramAlgorithmE0EEyLj320ELj8ELj320ELj100EEvPKT0_PS4_: ; @_Z6kernelI9histogramILN6hipcub23BlockHistogramAlgorithmE0EEyLj320ELj8ELj320ELj100EEvPKT0_PS4_
; %bb.0:
	s_mov_b64 s[98:99], s[2:3]
	s_mov_b64 s[96:97], s[0:1]
	s_mulk_i32 s6, 0x140
	s_add_u32 s96, s96, s7
	v_add_u32_e32 v2, s6, v0
	s_addc_u32 s97, s97, 0
	v_mov_b32_e32 v1, v2
	buffer_store_dword v1, off, s[96:99], 0 offset:124 ; 4-byte Folded Spill
	s_nop 0
	buffer_store_dword v2, off, s[96:99], 0 offset:128 ; 4-byte Folded Spill
	s_load_dwordx4 s[0:3], s[4:5], 0x0
	v_mov_b32_e32 v16, 0
                                        ; implicit-def: $vgpr127 : SGPR spill to VGPR lane
	s_movk_i32 s30, 0x140
	v_cmp_gt_u32_e64 s[34:35], s30, v0
	s_movk_i32 s33, 0x64
	s_waitcnt lgkmcnt(0)
	v_mov_b32_e32 v3, s1
	v_writelane_b32 v127, s0, 0
	v_writelane_b32 v127, s1, 1
	;; [unrolled: 1-line block ×4, first 2 shown]
	v_lshlrev_b32_e32 v1, 3, v2
	v_mov_b32_e32 v2, v16
	v_lshlrev_b64 v[1:2], 3, v[1:2]
	v_add_co_u32_e32 v17, vcc, s0, v1
	v_addc_co_u32_e32 v18, vcc, v3, v2, vcc
	global_load_dwordx4 v[8:11], v[17:18], off
	global_load_dwordx4 v[11:14], v[17:18], off offset:16
	global_load_dwordx4 v[1:4], v[17:18], off offset:32
	;; [unrolled: 1-line block ×3, first 2 shown]
                                        ; kill: killed $vgpr17 killed $vgpr18
	s_waitcnt vmcnt(3)
	v_lshlrev_b32_e32 v17, 30, v8
	s_waitcnt vmcnt(1)
	v_lshlrev_b32_e32 v2, 3, v8
	buffer_store_dword v2, off, s[96:99], 0 offset:92 ; 4-byte Folded Spill
	v_lshlrev_b32_e32 v2, 3, v10
	v_cmp_gt_i64_e64 s[0:1], 0, v[16:17]
	buffer_store_dword v2, off, s[96:99], 0 offset:96 ; 4-byte Folded Spill
	v_lshlrev_b32_e32 v2, 3, v11
	buffer_store_dword v2, off, s[96:99], 0 offset:100 ; 4-byte Folded Spill
	v_writelane_b32 v127, s0, 4
	v_not_b32_e32 v2, v17
	v_lshlrev_b32_e32 v17, 29, v8
	v_writelane_b32 v127, s1, 5
	v_cmp_gt_i64_e64 s[0:1], 0, v[16:17]
	s_waitcnt vmcnt(3)
	v_not_b32_e32 v5, v17
	v_writelane_b32 v127, s0, 6
	v_lshlrev_b32_e32 v17, 28, v8
	v_writelane_b32 v127, s1, 7
	v_cmp_gt_i64_e64 s[0:1], 0, v[16:17]
	v_not_b32_e32 v7, v17
	v_writelane_b32 v127, s0, 8
	v_lshlrev_b32_e32 v17, 27, v8
	v_writelane_b32 v127, s1, 9
	v_cmp_gt_i64_e64 s[0:1], 0, v[16:17]
	v_not_b32_e32 v9, v17
	v_writelane_b32 v127, s0, 10
	v_lshlrev_b32_e32 v17, 26, v8
	v_writelane_b32 v127, s1, 11
	v_cmp_gt_i64_e64 s[0:1], 0, v[16:17]
	v_not_b32_e32 v12, v17
	v_writelane_b32 v127, s0, 12
	v_lshlrev_b32_e32 v17, 25, v8
	v_writelane_b32 v127, s1, 13
	v_cmp_gt_i64_e64 s[0:1], 0, v[16:17]
	v_not_b32_e32 v14, v17
	v_writelane_b32 v127, s0, 14
	v_lshlrev_b32_e32 v17, 24, v8
	v_writelane_b32 v127, s1, 15
	v_cmp_gt_i64_e64 s[0:1], 0, v[16:17]
	v_not_b32_e32 v15, v17
	v_writelane_b32 v127, s0, 16
	v_lshlrev_b32_e32 v17, 23, v8
	v_writelane_b32 v127, s1, 17
	v_cmp_gt_i64_e64 s[0:1], 0, v[16:17]
	v_and_b32_e32 v67, 1, v8
	v_writelane_b32 v127, s0, 18
	v_not_b32_e32 v8, v17
	v_lshlrev_b32_e32 v17, 30, v10
	v_writelane_b32 v127, s1, 19
	v_cmp_gt_i64_e64 s[0:1], 0, v[16:17]
	v_not_b32_e32 v18, v17
	v_writelane_b32 v127, s0, 20
	v_lshlrev_b32_e32 v17, 29, v10
	v_writelane_b32 v127, s1, 21
	v_cmp_gt_i64_e64 s[0:1], 0, v[16:17]
	v_not_b32_e32 v19, v17
	v_writelane_b32 v127, s0, 22
	v_lshlrev_b32_e32 v17, 28, v10
	v_writelane_b32 v127, s1, 23
	v_cmp_gt_i64_e64 s[0:1], 0, v[16:17]
	v_not_b32_e32 v20, v17
	v_writelane_b32 v127, s0, 24
	v_lshlrev_b32_e32 v17, 27, v10
	v_writelane_b32 v127, s1, 25
	v_cmp_gt_i64_e64 s[0:1], 0, v[16:17]
	v_not_b32_e32 v21, v17
	v_writelane_b32 v127, s0, 26
	v_lshlrev_b32_e32 v17, 26, v10
	v_writelane_b32 v127, s1, 27
	v_cmp_gt_i64_e64 s[0:1], 0, v[16:17]
	v_not_b32_e32 v22, v17
	v_writelane_b32 v127, s0, 28
	v_lshlrev_b32_e32 v17, 25, v10
	v_writelane_b32 v127, s1, 29
	v_cmp_gt_i64_e64 s[0:1], 0, v[16:17]
	v_not_b32_e32 v23, v17
	v_writelane_b32 v127, s0, 30
	v_lshlrev_b32_e32 v17, 24, v10
	v_writelane_b32 v127, s1, 31
	v_cmp_gt_i64_e64 s[0:1], 0, v[16:17]
	v_not_b32_e32 v24, v17
	v_writelane_b32 v127, s0, 32
	v_lshlrev_b32_e32 v17, 23, v10
	v_writelane_b32 v127, s1, 33
	v_cmp_gt_i64_e64 s[0:1], 0, v[16:17]
	v_and_b32_e32 v66, 1, v10
	v_writelane_b32 v127, s0, 34
	v_not_b32_e32 v10, v17
	v_lshlrev_b32_e32 v17, 30, v11
	v_writelane_b32 v127, s1, 35
	v_cmp_gt_i64_e64 s[0:1], 0, v[16:17]
	v_not_b32_e32 v25, v17
	v_writelane_b32 v127, s0, 36
	v_lshlrev_b32_e32 v17, 29, v11
	v_writelane_b32 v127, s1, 37
	v_cmp_gt_i64_e64 s[0:1], 0, v[16:17]
	;; [unrolled: 41-line block ×3, first 2 shown]
	v_not_b32_e32 v53, v17
	v_writelane_b32 v127, s0, 54
	v_lshlrev_b32_e32 v17, 28, v13
	v_writelane_b32 v127, s1, 55
	v_cmp_gt_i64_e64 s[0:1], 0, v[16:17]
	v_add_co_u32_e32 v31, vcc, -1, v67
	v_writelane_b32 v127, s0, 56
	v_writelane_b32 v127, s1, 57
	buffer_store_dword v31, off, s[96:99], 0 ; 4-byte Folded Spill
	v_addc_co_u32_e64 v31, s[0:1], 0, -1, vcc
	buffer_store_dword v31, off, s[96:99], 0 offset:4 ; 4-byte Folded Spill
	v_add_co_u32_e32 v31, vcc, -1, v66
	v_not_b32_e32 v54, v17
	v_lshlrev_b32_e32 v17, 27, v13
	buffer_store_dword v31, off, s[96:99], 0 offset:8 ; 4-byte Folded Spill
	v_addc_co_u32_e64 v31, s[0:1], 0, -1, vcc
	v_cmp_gt_i64_e64 s[54:55], 0, v[16:17]
	v_not_b32_e32 v55, v17
	v_lshlrev_b32_e32 v17, 26, v13
	buffer_store_dword v31, off, s[96:99], 0 offset:12 ; 4-byte Folded Spill
	v_add_co_u32_e32 v31, vcc, -1, v64
	v_and_b32_e32 v65, 1, v13
	v_cmp_gt_i64_e64 s[56:57], 0, v[16:17]
	v_not_b32_e32 v57, v17
	v_lshlrev_b32_e32 v17, 25, v13
	buffer_store_dword v31, off, s[96:99], 0 offset:16 ; 4-byte Folded Spill
	v_addc_co_u32_e64 v31, s[0:1], 0, -1, vcc
	v_cmp_gt_i64_e64 s[58:59], 0, v[16:17]
	v_not_b32_e32 v58, v17
	v_lshlrev_b32_e32 v17, 24, v13
	buffer_store_dword v31, off, s[96:99], 0 offset:20 ; 4-byte Folded Spill
	v_add_co_u32_e32 v31, vcc, -1, v65
	v_cmp_gt_i64_e64 s[60:61], 0, v[16:17]
	v_not_b32_e32 v59, v17
	v_lshlrev_b32_e32 v17, 23, v13
	v_lshlrev_b32_e32 v13, 3, v13
	v_and_b32_e32 v69, 1, v1
	buffer_store_dword v31, off, s[96:99], 0 offset:24 ; 4-byte Folded Spill
	v_addc_co_u32_e64 v31, s[0:1], 0, -1, vcc
	buffer_store_dword v13, off, s[96:99], 0 offset:104 ; 4-byte Folded Spill
	v_cmp_gt_i64_e64 s[62:63], 0, v[16:17]
	v_not_b32_e32 v13, v17
	v_lshlrev_b32_e32 v17, 30, v1
	buffer_store_dword v31, off, s[96:99], 0 offset:28 ; 4-byte Folded Spill
	v_add_co_u32_e32 v31, vcc, -1, v69
	v_cmp_gt_i64_e64 s[64:65], 0, v[16:17]
	v_not_b32_e32 v61, v17
	v_lshlrev_b32_e32 v17, 29, v1
	v_and_b32_e32 v68, 1, v3
	buffer_store_dword v31, off, s[96:99], 0 offset:32 ; 4-byte Folded Spill
	v_addc_co_u32_e64 v31, s[0:1], 0, -1, vcc
	v_cmp_gt_i64_e64 s[66:67], 0, v[16:17]
	v_not_b32_e32 v62, v17
	v_lshlrev_b32_e32 v17, 28, v1
	buffer_store_dword v31, off, s[96:99], 0 offset:36 ; 4-byte Folded Spill
	v_add_co_u32_e32 v31, vcc, -1, v68
	v_cmp_gt_i64_e64 s[68:69], 0, v[16:17]
	v_not_b32_e32 v63, v17
	v_lshlrev_b32_e32 v17, 27, v1
	v_and_b32_e32 v74, 1, v4
	buffer_store_dword v31, off, s[96:99], 0 offset:40 ; 4-byte Folded Spill
	v_addc_co_u32_e64 v31, s[0:1], 0, -1, vcc
	;; [unrolled: 11-line block ×3, first 2 shown]
	v_cmp_gt_i64_e64 s[74:75], 0, v[16:17]
	v_not_b32_e32 v72, v17
	v_lshlrev_b32_e32 v17, 24, v1
	buffer_store_dword v31, off, s[96:99], 0 offset:52 ; 4-byte Folded Spill
	v_add_co_u32_e32 v31, vcc, -1, v75
	v_cmp_gt_i64_e64 s[76:77], 0, v[16:17]
	v_not_b32_e32 v73, v17
	v_lshlrev_b32_e32 v17, 23, v1
	buffer_store_dword v31, off, s[96:99], 0 offset:56 ; 4-byte Folded Spill
	v_addc_co_u32_e64 v31, s[0:1], 0, -1, vcc
	buffer_store_dword v31, off, s[96:99], 0 offset:60 ; 4-byte Folded Spill
	v_cmp_gt_i64_e64 s[78:79], 0, v[16:17]
	v_not_b32_e32 v31, v17
	v_lshlrev_b32_e32 v17, 30, v3
	v_not_b32_e32 v32, v17
	v_cmp_gt_i64_e64 s[80:81], 0, v[16:17]
	v_lshlrev_b32_e32 v17, 29, v3
	v_not_b32_e32 v76, v17
	v_cmp_gt_i64_e64 s[82:83], 0, v[16:17]
	;; [unrolled: 3-line block ×20, first 2 shown]
	v_lshlrev_b32_e32 v17, 26, v6
	v_lshlrev_b32_e32 v1, 3, v1
	v_not_b32_e32 v112, v17
	v_cmp_gt_i64_e64 s[24:25], 0, v[16:17]
	v_lshlrev_b32_e32 v17, 25, v6
	buffer_store_dword v1, off, s[96:99], 0 offset:108 ; 4-byte Folded Spill
	v_lshlrev_b32_e32 v1, 3, v3
	v_not_b32_e32 v113, v17
	v_cmp_gt_i64_e64 s[26:27], 0, v[16:17]
	v_lshlrev_b32_e32 v17, 24, v6
	buffer_store_dword v1, off, s[96:99], 0 offset:112 ; 4-byte Folded Spill
	v_not_b32_e32 v114, v17
	v_cmp_gt_i64_e64 s[28:29], 0, v[16:17]
	v_lshlrev_b32_e32 v17, 23, v6
	v_lshlrev_b32_e32 v1, 3, v4
	buffer_store_dword v1, off, s[96:99], 0 offset:116 ; 4-byte Folded Spill
	v_lshlrev_b32_e32 v1, 3, v6
	v_ashrrev_i32_e32 v83, 31, v5
	v_ashrrev_i32_e32 v84, 31, v7
	;; [unrolled: 1-line block ×14, first 2 shown]
	v_lshlrev_b32_e32 v13, 3, v0
	v_not_b32_e32 v30, v17
	buffer_store_dword v1, off, s[96:99], 0 offset:120 ; 4-byte Folded Spill
	v_ashrrev_i32_e32 v33, 31, v2
	v_ashrrev_i32_e32 v89, 31, v22
	v_ashrrev_i32_e32 v90, 31, v23
	v_ashrrev_i32_e32 v91, 31, v24
	v_ashrrev_i32_e32 v92, 31, v10
	v_ashrrev_i32_e32 v93, 31, v25
	v_ashrrev_i32_e32 v94, 31, v26
	v_ashrrev_i32_e32 v95, 31, v27
	v_ashrrev_i32_e32 v96, 31, v28
	v_ashrrev_i32_e32 v97, 31, v29
	v_ashrrev_i32_e32 v99, 31, v50
	v_ashrrev_i32_e32 v116, 31, v52
	v_ashrrev_i32_e32 v117, 31, v53
	v_ashrrev_i32_e32 v118, 31, v54
	v_ashrrev_i32_e32 v119, 31, v55
	v_ashrrev_i32_e32 v57, 31, v57
	v_ashrrev_i32_e32 v58, 31, v58
	v_ashrrev_i32_e32 v59, 31, v59
	v_ashrrev_i32_e32 v61, 31, v61
	v_ashrrev_i32_e32 v62, 31, v62
	v_ashrrev_i32_e32 v63, 31, v63
	v_ashrrev_i32_e32 v15, 31, v70
	v_ashrrev_i32_e32 v2, 31, v71
	v_ashrrev_i32_e32 v5, 31, v72
	v_ashrrev_i32_e32 v7, 31, v73
	v_ashrrev_i32_e32 v8, 31, v31
	v_ashrrev_i32_e32 v1, 31, v32
	v_ashrrev_i32_e32 v3, 31, v76
	v_ashrrev_i32_e32 v4, 31, v77
	v_ashrrev_i32_e32 v6, 31, v78
	v_ashrrev_i32_e32 v55, 31, v79
	v_ashrrev_i32_e32 v9, 31, v80
	v_ashrrev_i32_e32 v10, 31, v81
	v_ashrrev_i32_e32 v11, 31, v82
	buffer_store_dword v13, off, s[96:99], 0 offset:88 ; 4-byte Folded Spill
	buffer_store_dword v33, off, s[96:99], 0 offset:64 ; 4-byte Folded Spill
	buffer_store_dword v33, off, s[96:99], 0 offset:76 ; 4-byte Folded Spill
	buffer_store_dword v83, off, s[96:99], 0 offset:68 ; 4-byte Folded Spill
	buffer_store_dword v83, off, s[96:99], 0 offset:80 ; 4-byte Folded Spill
	buffer_store_dword v84, off, s[96:99], 0 offset:72 ; 4-byte Folded Spill
	buffer_store_dword v84, off, s[96:99], 0 offset:84 ; 4-byte Folded Spill
	v_mov_b32_e32 v37, v85
	v_mov_b32_e32 v80, v85
	;; [unrolled: 1-line block ×18, first 2 shown]
	v_ashrrev_i32_e32 v12, 31, v100
	v_ashrrev_i32_e32 v13, 31, v101
	;; [unrolled: 1-line block ×16, first 2 shown]
	v_cmp_gt_i64_e64 s[50:51], 0, v[16:17]
	v_mov_b32_e32 v45, v88
	v_mov_b32_e32 v46, v89
	v_mov_b32_e32 v47, v90
	v_mov_b32_e32 v48, v91
	v_mov_b32_e32 v49, v92
	v_mov_b32_e32 v50, v93
	v_mov_b32_e32 v51, v94
	v_mov_b32_e32 v52, v95
	v_mov_b32_e32 v34, v96
	v_mov_b32_e32 v77, v97
	v_mov_b32_e32 v53, v98
	v_mov_b32_e32 v35, v99
	v_cmp_eq_u32_e64 s[30:31], 1, v67
	v_cmp_eq_u32_e64 s[36:37], 1, v66
	v_mov_b32_e32 v54, v116
	v_cmp_eq_u32_e64 s[38:39], 1, v64
	v_mov_b32_e32 v36, v117
	;; [unrolled: 2-line block ×7, first 2 shown]
	v_mov_b32_e32 v123, v60
	v_mov_b32_e32 v124, v61
	;; [unrolled: 1-line block ×33, first 2 shown]
	s_branch .LBB28_2
.LBB28_1:                               ;   in Loop: Header=BB28_2 Depth=1
	s_or_b64 exec, exec, s[52:53]
	s_add_i32 s33, s33, -1
	s_cmp_lg_u32 s33, 0
	s_waitcnt lgkmcnt(0)
	s_barrier
	s_cbranch_scc0 .LBB28_20
.LBB28_2:                               ; =>This Inner Loop Header: Depth=1
	s_and_saveexec_b64 s[52:53], s[34:35]
	s_cbranch_execz .LBB28_4
; %bb.3:                                ;   in Loop: Header=BB28_2 Depth=1
	buffer_load_dword v31, off, s[96:99], 0 offset:88 ; 4-byte Folded Reload
	v_mov_b32_e32 v17, v16
	s_waitcnt vmcnt(0)
	ds_write_b64 v31, v[16:17]
.LBB28_4:                               ;   in Loop: Header=BB28_2 Depth=1
	s_or_b64 exec, exec, s[52:53]
	v_cndmask_b32_e64 v17, 0, 1, s[30:31]
	s_waitcnt vmcnt(0) lgkmcnt(0)
	s_barrier
	v_cmp_ne_u32_e32 vcc, 0, v17
	buffer_load_dword v17, off, s[96:99], 0 offset:4 ; 4-byte Folded Reload
	buffer_load_dword v33, off, s[96:99], 0 offset:64 ; 4-byte Folded Reload
	buffer_load_dword v31, off, s[96:99], 0 ; 4-byte Folded Reload
	v_readlane_b32 s52, v127, 4
	v_readlane_b32 s53, v127, 5
	v_cndmask_b32_e64 v32, 0, 1, s[52:53]
	v_readlane_b32 s52, v127, 6
	v_readlane_b32 s53, v127, 7
	s_waitcnt vmcnt(2)
	v_xor_b32_e32 v17, vcc_hi, v17
	v_and_b32_e32 v17, exec_hi, v17
	s_waitcnt vmcnt(0)
	v_xor_b32_e32 v31, vcc_lo, v31
	v_cmp_ne_u32_e32 vcc, 0, v32
	buffer_load_dword v32, off, s[96:99], 0 offset:76 ; 4-byte Folded Reload
	v_and_b32_e32 v31, exec_lo, v31
	v_xor_b32_e32 v33, vcc_lo, v33
	v_and_b32_e32 v31, v31, v33
	buffer_load_dword v33, off, s[96:99], 0 offset:68 ; 4-byte Folded Reload
	s_waitcnt vmcnt(1)
	v_xor_b32_e32 v32, vcc_hi, v32
	v_and_b32_e32 v17, v17, v32
	v_cndmask_b32_e64 v32, 0, 1, s[52:53]
	v_cmp_ne_u32_e32 vcc, 0, v32
	buffer_load_dword v32, off, s[96:99], 0 offset:80 ; 4-byte Folded Reload
	s_waitcnt vmcnt(1)
	v_xor_b32_e32 v33, vcc_lo, v33
	v_readlane_b32 s52, v127, 8
	v_and_b32_e32 v31, v31, v33
	v_readlane_b32 s53, v127, 9
	buffer_load_dword v33, off, s[96:99], 0 offset:72 ; 4-byte Folded Reload
	s_waitcnt vmcnt(1)
	v_xor_b32_e32 v32, vcc_hi, v32
	v_and_b32_e32 v17, v17, v32
	v_cndmask_b32_e64 v32, 0, 1, s[52:53]
	v_cmp_ne_u32_e32 vcc, 0, v32
	buffer_load_dword v32, off, s[96:99], 0 offset:84 ; 4-byte Folded Reload
	v_readlane_b32 s52, v127, 10
	v_readlane_b32 s53, v127, 11
	s_waitcnt vmcnt(1)
	v_xor_b32_e32 v33, vcc_lo, v33
	v_and_b32_e32 v31, v31, v33
	s_waitcnt vmcnt(0)
	v_xor_b32_e32 v32, vcc_hi, v32
	v_and_b32_e32 v17, v17, v32
	v_cndmask_b32_e64 v32, 0, 1, s[52:53]
	v_cmp_ne_u32_e32 vcc, 0, v32
	v_readlane_b32 s52, v127, 12
	v_xor_b32_e32 v32, vcc_hi, v80
	v_readlane_b32 s53, v127, 13
	v_and_b32_e32 v17, v17, v32
	v_cndmask_b32_e64 v32, 0, 1, s[52:53]
	v_xor_b32_e32 v33, vcc_lo, v37
	v_cmp_ne_u32_e32 vcc, 0, v32
	v_readlane_b32 s52, v127, 14
	v_xor_b32_e32 v32, vcc_hi, v81
	v_readlane_b32 s53, v127, 15
	v_and_b32_e32 v17, v17, v32
	v_cndmask_b32_e64 v32, 0, 1, s[52:53]
	v_and_b32_e32 v31, v31, v33
	v_xor_b32_e32 v33, vcc_lo, v38
	v_cmp_ne_u32_e32 vcc, 0, v32
	v_readlane_b32 s52, v127, 16
	v_xor_b32_e32 v32, vcc_hi, v82
	v_readlane_b32 s53, v127, 17
	v_and_b32_e32 v17, v17, v32
	v_cndmask_b32_e64 v32, 0, 1, s[52:53]
	v_and_b32_e32 v31, v31, v33
	;; [unrolled: 8-line block ×3, first 2 shown]
	v_xor_b32_e32 v33, vcc_lo, v40
	v_cmp_ne_u32_e32 vcc, 0, v32
	v_and_b32_e32 v31, v31, v33
	v_xor_b32_e32 v33, vcc_lo, v41
	v_xor_b32_e32 v32, vcc_hi, v84
	v_and_b32_e32 v31, v31, v33
	v_and_b32_e32 v17, v17, v32
	v_mbcnt_lo_u32_b32 v32, v31, 0
	v_mbcnt_hi_u32_b32 v32, v17, v32
	v_cmp_eq_u32_e32 vcc, 0, v32
	s_and_saveexec_b64 s[52:53], vcc
	s_cbranch_execz .LBB28_6
; %bb.5:                                ;   in Loop: Header=BB28_2 Depth=1
	v_bcnt_u32_b32 v31, v31, 0
	v_bcnt_u32_b32 v31, v17, v31
	buffer_load_dword v17, off, s[96:99], 0 offset:92 ; 4-byte Folded Reload
	v_mov_b32_e32 v32, v16
	s_waitcnt vmcnt(0)
	ds_add_u64 v17, v[31:32]
.LBB28_6:                               ;   in Loop: Header=BB28_2 Depth=1
	s_or_b64 exec, exec, s[52:53]
	v_cndmask_b32_e64 v17, 0, 1, s[36:37]
	v_cmp_ne_u32_e32 vcc, 0, v17
	buffer_load_dword v17, off, s[96:99], 0 offset:12 ; 4-byte Folded Reload
	buffer_load_dword v31, off, s[96:99], 0 offset:8 ; 4-byte Folded Reload
	v_readlane_b32 s52, v127, 20
	v_readlane_b32 s53, v127, 21
	v_cndmask_b32_e64 v32, 0, 1, s[52:53]
	v_readlane_b32 s52, v127, 22
	v_readlane_b32 s53, v127, 23
	s_waitcnt vmcnt(1)
	v_xor_b32_e32 v17, vcc_hi, v17
	s_waitcnt vmcnt(0)
	v_xor_b32_e32 v31, vcc_lo, v31
	v_cmp_ne_u32_e32 vcc, 0, v32
	v_and_b32_e32 v17, exec_hi, v17
	v_xor_b32_e32 v32, vcc_hi, v85
	v_and_b32_e32 v17, v17, v32
	v_cndmask_b32_e64 v32, 0, 1, s[52:53]
	v_xor_b32_e32 v33, vcc_lo, v42
	v_cmp_ne_u32_e32 vcc, 0, v32
	v_readlane_b32 s52, v127, 24
	v_xor_b32_e32 v32, vcc_hi, v86
	v_readlane_b32 s53, v127, 25
	v_and_b32_e32 v31, exec_lo, v31
	v_and_b32_e32 v17, v17, v32
	v_cndmask_b32_e64 v32, 0, 1, s[52:53]
	v_and_b32_e32 v31, v31, v33
	v_xor_b32_e32 v33, vcc_lo, v43
	v_cmp_ne_u32_e32 vcc, 0, v32
	v_readlane_b32 s52, v127, 26
	v_xor_b32_e32 v32, vcc_hi, v87
	v_readlane_b32 s53, v127, 27
	v_and_b32_e32 v17, v17, v32
	v_cndmask_b32_e64 v32, 0, 1, s[52:53]
	v_and_b32_e32 v31, v31, v33
	v_xor_b32_e32 v33, vcc_lo, v44
	v_cmp_ne_u32_e32 vcc, 0, v32
	v_readlane_b32 s52, v127, 28
	v_xor_b32_e32 v32, vcc_hi, v88
	v_readlane_b32 s53, v127, 29
	;; [unrolled: 8-line block ×5, first 2 shown]
	v_and_b32_e32 v17, v17, v32
	v_cndmask_b32_e64 v32, 0, 1, s[52:53]
	v_and_b32_e32 v31, v31, v33
	v_xor_b32_e32 v33, vcc_lo, v48
	v_cmp_ne_u32_e32 vcc, 0, v32
	v_and_b32_e32 v31, v31, v33
	v_xor_b32_e32 v33, vcc_lo, v49
	v_xor_b32_e32 v32, vcc_hi, v92
	v_and_b32_e32 v31, v31, v33
	v_and_b32_e32 v17, v17, v32
	v_mbcnt_lo_u32_b32 v32, v31, 0
	v_mbcnt_hi_u32_b32 v32, v17, v32
	v_cmp_eq_u32_e32 vcc, 0, v32
	s_and_saveexec_b64 s[52:53], vcc
	s_cbranch_execz .LBB28_8
; %bb.7:                                ;   in Loop: Header=BB28_2 Depth=1
	v_bcnt_u32_b32 v31, v31, 0
	v_bcnt_u32_b32 v31, v17, v31
	buffer_load_dword v17, off, s[96:99], 0 offset:96 ; 4-byte Folded Reload
	v_mov_b32_e32 v32, v16
	s_waitcnt vmcnt(0)
	ds_add_u64 v17, v[31:32]
.LBB28_8:                               ;   in Loop: Header=BB28_2 Depth=1
	s_or_b64 exec, exec, s[52:53]
	v_cndmask_b32_e64 v17, 0, 1, s[38:39]
	v_cmp_ne_u32_e32 vcc, 0, v17
	buffer_load_dword v17, off, s[96:99], 0 offset:20 ; 4-byte Folded Reload
	buffer_load_dword v31, off, s[96:99], 0 offset:16 ; 4-byte Folded Reload
	v_readlane_b32 s52, v127, 36
	v_readlane_b32 s53, v127, 37
	v_cndmask_b32_e64 v32, 0, 1, s[52:53]
	v_readlane_b32 s52, v127, 38
	v_readlane_b32 s53, v127, 39
	s_waitcnt vmcnt(1)
	v_xor_b32_e32 v17, vcc_hi, v17
	s_waitcnt vmcnt(0)
	v_xor_b32_e32 v31, vcc_lo, v31
	v_cmp_ne_u32_e32 vcc, 0, v32
	v_and_b32_e32 v17, exec_hi, v17
	v_xor_b32_e32 v32, vcc_hi, v93
	v_and_b32_e32 v17, v17, v32
	v_cndmask_b32_e64 v32, 0, 1, s[52:53]
	v_xor_b32_e32 v33, vcc_lo, v50
	v_cmp_ne_u32_e32 vcc, 0, v32
	v_readlane_b32 s52, v127, 40
	v_xor_b32_e32 v32, vcc_hi, v94
	v_readlane_b32 s53, v127, 41
	v_and_b32_e32 v31, exec_lo, v31
	v_and_b32_e32 v17, v17, v32
	v_cndmask_b32_e64 v32, 0, 1, s[52:53]
	v_and_b32_e32 v31, v31, v33
	v_xor_b32_e32 v33, vcc_lo, v51
	v_cmp_ne_u32_e32 vcc, 0, v32
	v_readlane_b32 s52, v127, 42
	v_xor_b32_e32 v32, vcc_hi, v95
	v_readlane_b32 s53, v127, 43
	v_and_b32_e32 v17, v17, v32
	v_cndmask_b32_e64 v32, 0, 1, s[52:53]
	v_and_b32_e32 v31, v31, v33
	v_xor_b32_e32 v33, vcc_lo, v52
	v_cmp_ne_u32_e32 vcc, 0, v32
	v_readlane_b32 s52, v127, 44
	v_xor_b32_e32 v32, vcc_hi, v96
	v_readlane_b32 s53, v127, 45
	v_and_b32_e32 v17, v17, v32
	v_cndmask_b32_e64 v32, 0, 1, s[52:53]
	v_and_b32_e32 v31, v31, v33
	v_xor_b32_e32 v33, vcc_lo, v34
	v_cmp_ne_u32_e32 vcc, 0, v32
	v_readlane_b32 s52, v127, 46
	v_xor_b32_e32 v32, vcc_hi, v97
	v_readlane_b32 s53, v127, 47
	v_and_b32_e32 v17, v17, v32
	v_cndmask_b32_e64 v32, 0, 1, s[52:53]
	v_and_b32_e32 v31, v31, v33
	v_xor_b32_e32 v33, vcc_lo, v77
	v_cmp_ne_u32_e32 vcc, 0, v32
	v_readlane_b32 s52, v127, 48
	v_xor_b32_e32 v32, vcc_hi, v98
	v_readlane_b32 s53, v127, 49
	v_and_b32_e32 v17, v17, v32
	v_cndmask_b32_e64 v32, 0, 1, s[52:53]
	v_and_b32_e32 v31, v31, v33
	v_xor_b32_e32 v33, vcc_lo, v53
	v_cmp_ne_u32_e32 vcc, 0, v32
	v_readlane_b32 s52, v127, 50
	v_xor_b32_e32 v32, vcc_hi, v99
	v_readlane_b32 s53, v127, 51
	v_and_b32_e32 v17, v17, v32
	v_cndmask_b32_e64 v32, 0, 1, s[52:53]
	v_and_b32_e32 v31, v31, v33
	v_xor_b32_e32 v33, vcc_lo, v35
	v_cmp_ne_u32_e32 vcc, 0, v32
	v_and_b32_e32 v31, v31, v33
	v_xor_b32_e32 v33, vcc_lo, v78
	v_xor_b32_e32 v32, vcc_hi, v0
	v_and_b32_e32 v31, v31, v33
	v_and_b32_e32 v17, v17, v32
	v_mbcnt_lo_u32_b32 v32, v31, 0
	v_mbcnt_hi_u32_b32 v32, v17, v32
	v_cmp_eq_u32_e32 vcc, 0, v32
	s_and_saveexec_b64 s[52:53], vcc
	s_cbranch_execz .LBB28_10
; %bb.9:                                ;   in Loop: Header=BB28_2 Depth=1
	v_bcnt_u32_b32 v31, v31, 0
	v_bcnt_u32_b32 v31, v17, v31
	buffer_load_dword v17, off, s[96:99], 0 offset:100 ; 4-byte Folded Reload
	v_mov_b32_e32 v32, v16
	s_waitcnt vmcnt(0)
	ds_add_u64 v17, v[31:32]
.LBB28_10:                              ;   in Loop: Header=BB28_2 Depth=1
	s_or_b64 exec, exec, s[52:53]
	v_cndmask_b32_e64 v17, 0, 1, s[40:41]
	v_cmp_ne_u32_e32 vcc, 0, v17
	buffer_load_dword v17, off, s[96:99], 0 offset:28 ; 4-byte Folded Reload
	buffer_load_dword v31, off, s[96:99], 0 offset:24 ; 4-byte Folded Reload
	v_readlane_b32 s52, v127, 52
	v_readlane_b32 s53, v127, 53
	v_cndmask_b32_e64 v32, 0, 1, s[52:53]
	v_readlane_b32 s52, v127, 54
	v_readlane_b32 s53, v127, 55
	s_waitcnt vmcnt(1)
	v_xor_b32_e32 v17, vcc_hi, v17
	s_waitcnt vmcnt(0)
	v_xor_b32_e32 v31, vcc_lo, v31
	v_cmp_ne_u32_e32 vcc, 0, v32
	v_and_b32_e32 v17, exec_hi, v17
	v_xor_b32_e32 v32, vcc_hi, v116
	v_and_b32_e32 v17, v17, v32
	v_cndmask_b32_e64 v32, 0, 1, s[52:53]
	v_xor_b32_e32 v33, vcc_lo, v54
	v_cmp_ne_u32_e32 vcc, 0, v32
	v_readlane_b32 s52, v127, 56
	v_xor_b32_e32 v32, vcc_hi, v117
	v_readlane_b32 s53, v127, 57
	v_and_b32_e32 v31, exec_lo, v31
	v_and_b32_e32 v17, v17, v32
	v_cndmask_b32_e64 v32, 0, 1, s[52:53]
	v_and_b32_e32 v31, v31, v33
	v_xor_b32_e32 v33, vcc_lo, v36
	v_cmp_ne_u32_e32 vcc, 0, v32
	v_xor_b32_e32 v32, vcc_hi, v118
	v_and_b32_e32 v17, v17, v32
	v_cndmask_b32_e64 v32, 0, 1, s[54:55]
	v_and_b32_e32 v31, v31, v33
	v_xor_b32_e32 v33, vcc_lo, v56
	v_cmp_ne_u32_e32 vcc, 0, v32
	v_xor_b32_e32 v32, vcc_hi, v119
	;; [unrolled: 6-line block ×5, first 2 shown]
	v_and_b32_e32 v17, v17, v32
	v_cndmask_b32_e64 v32, 0, 1, s[62:63]
	v_and_b32_e32 v31, v31, v33
	v_xor_b32_e32 v33, vcc_lo, v59
	v_cmp_ne_u32_e32 vcc, 0, v32
	v_and_b32_e32 v31, v31, v33
	v_xor_b32_e32 v33, vcc_lo, v60
	v_xor_b32_e32 v32, vcc_hi, v123
	v_and_b32_e32 v31, v31, v33
	v_and_b32_e32 v17, v17, v32
	v_mbcnt_lo_u32_b32 v32, v31, 0
	v_mbcnt_hi_u32_b32 v32, v17, v32
	v_cmp_eq_u32_e32 vcc, 0, v32
	s_and_saveexec_b64 s[52:53], vcc
	s_cbranch_execz .LBB28_12
; %bb.11:                               ;   in Loop: Header=BB28_2 Depth=1
	v_bcnt_u32_b32 v31, v31, 0
	v_bcnt_u32_b32 v31, v17, v31
	buffer_load_dword v17, off, s[96:99], 0 offset:104 ; 4-byte Folded Reload
	v_mov_b32_e32 v32, v16
	s_waitcnt vmcnt(0)
	ds_add_u64 v17, v[31:32]
.LBB28_12:                              ;   in Loop: Header=BB28_2 Depth=1
	s_or_b64 exec, exec, s[52:53]
	v_cndmask_b32_e64 v17, 0, 1, s[42:43]
	v_cmp_ne_u32_e32 vcc, 0, v17
	buffer_load_dword v17, off, s[96:99], 0 offset:36 ; 4-byte Folded Reload
	buffer_load_dword v31, off, s[96:99], 0 offset:32 ; 4-byte Folded Reload
	v_cndmask_b32_e64 v32, 0, 1, s[64:65]
	s_waitcnt vmcnt(1)
	v_xor_b32_e32 v17, vcc_hi, v17
	s_waitcnt vmcnt(0)
	v_xor_b32_e32 v31, vcc_lo, v31
	v_cmp_ne_u32_e32 vcc, 0, v32
	v_and_b32_e32 v17, exec_hi, v17
	v_xor_b32_e32 v32, vcc_hi, v124
	v_and_b32_e32 v17, v17, v32
	v_cndmask_b32_e64 v32, 0, 1, s[66:67]
	v_xor_b32_e32 v33, vcc_lo, v61
	v_cmp_ne_u32_e32 vcc, 0, v32
	v_xor_b32_e32 v32, vcc_hi, v125
	v_and_b32_e32 v31, exec_lo, v31
	v_and_b32_e32 v17, v17, v32
	v_cndmask_b32_e64 v32, 0, 1, s[68:69]
	v_and_b32_e32 v31, v31, v33
	v_xor_b32_e32 v33, vcc_lo, v62
	v_cmp_ne_u32_e32 vcc, 0, v32
	v_xor_b32_e32 v32, vcc_hi, v126
	v_and_b32_e32 v17, v17, v32
	v_cndmask_b32_e64 v32, 0, 1, s[70:71]
	v_and_b32_e32 v31, v31, v33
	v_xor_b32_e32 v33, vcc_lo, v63
	v_cmp_ne_u32_e32 vcc, 0, v32
	v_xor_b32_e32 v32, vcc_hi, v64
	;; [unrolled: 6-line block ×5, first 2 shown]
	v_and_b32_e32 v17, v17, v32
	v_cndmask_b32_e64 v32, 0, 1, s[78:79]
	v_and_b32_e32 v31, v31, v33
	v_xor_b32_e32 v33, vcc_lo, v7
	v_cmp_ne_u32_e32 vcc, 0, v32
	v_and_b32_e32 v31, v31, v33
	v_xor_b32_e32 v33, vcc_lo, v8
	v_xor_b32_e32 v32, vcc_hi, v68
	v_and_b32_e32 v31, v31, v33
	v_and_b32_e32 v17, v17, v32
	v_mbcnt_lo_u32_b32 v32, v31, 0
	v_mbcnt_hi_u32_b32 v32, v17, v32
	v_cmp_eq_u32_e32 vcc, 0, v32
	s_and_saveexec_b64 s[52:53], vcc
	s_cbranch_execz .LBB28_14
; %bb.13:                               ;   in Loop: Header=BB28_2 Depth=1
	v_bcnt_u32_b32 v31, v31, 0
	v_bcnt_u32_b32 v31, v17, v31
	buffer_load_dword v17, off, s[96:99], 0 offset:108 ; 4-byte Folded Reload
	v_mov_b32_e32 v32, v16
	s_waitcnt vmcnt(0)
	ds_add_u64 v17, v[31:32]
.LBB28_14:                              ;   in Loop: Header=BB28_2 Depth=1
	s_or_b64 exec, exec, s[52:53]
	v_cndmask_b32_e64 v17, 0, 1, s[44:45]
	v_cmp_ne_u32_e32 vcc, 0, v17
	buffer_load_dword v17, off, s[96:99], 0 offset:44 ; 4-byte Folded Reload
	buffer_load_dword v31, off, s[96:99], 0 offset:40 ; 4-byte Folded Reload
	v_cndmask_b32_e64 v32, 0, 1, s[80:81]
	s_waitcnt vmcnt(1)
	v_xor_b32_e32 v17, vcc_hi, v17
	s_waitcnt vmcnt(0)
	v_xor_b32_e32 v31, vcc_lo, v31
	v_cmp_ne_u32_e32 vcc, 0, v32
	v_and_b32_e32 v17, exec_hi, v17
	v_xor_b32_e32 v32, vcc_hi, v69
	v_and_b32_e32 v17, v17, v32
	v_cndmask_b32_e64 v32, 0, 1, s[82:83]
	v_xor_b32_e32 v33, vcc_lo, v1
	v_cmp_ne_u32_e32 vcc, 0, v32
	v_xor_b32_e32 v32, vcc_hi, v70
	v_and_b32_e32 v31, exec_lo, v31
	v_and_b32_e32 v17, v17, v32
	v_cndmask_b32_e64 v32, 0, 1, s[84:85]
	v_and_b32_e32 v31, v31, v33
	v_xor_b32_e32 v33, vcc_lo, v3
	v_cmp_ne_u32_e32 vcc, 0, v32
	v_xor_b32_e32 v32, vcc_hi, v71
	v_and_b32_e32 v17, v17, v32
	v_cndmask_b32_e64 v32, 0, 1, s[86:87]
	v_and_b32_e32 v31, v31, v33
	v_xor_b32_e32 v33, vcc_lo, v4
	v_cmp_ne_u32_e32 vcc, 0, v32
	v_xor_b32_e32 v32, vcc_hi, v72
	;; [unrolled: 6-line block ×5, first 2 shown]
	v_and_b32_e32 v17, v17, v32
	v_cndmask_b32_e64 v32, 0, 1, s[94:95]
	v_and_b32_e32 v31, v31, v33
	v_xor_b32_e32 v33, vcc_lo, v10
	v_cmp_ne_u32_e32 vcc, 0, v32
	v_and_b32_e32 v31, v31, v33
	v_xor_b32_e32 v33, vcc_lo, v11
	v_xor_b32_e32 v32, vcc_hi, v76
	v_and_b32_e32 v31, v31, v33
	v_and_b32_e32 v17, v17, v32
	v_mbcnt_lo_u32_b32 v32, v31, 0
	v_mbcnt_hi_u32_b32 v32, v17, v32
	v_cmp_eq_u32_e32 vcc, 0, v32
	s_and_saveexec_b64 s[52:53], vcc
	s_cbranch_execz .LBB28_16
; %bb.15:                               ;   in Loop: Header=BB28_2 Depth=1
	v_bcnt_u32_b32 v31, v31, 0
	v_bcnt_u32_b32 v31, v17, v31
	buffer_load_dword v17, off, s[96:99], 0 offset:112 ; 4-byte Folded Reload
	v_mov_b32_e32 v32, v16
	s_waitcnt vmcnt(0)
	ds_add_u64 v17, v[31:32]
.LBB28_16:                              ;   in Loop: Header=BB28_2 Depth=1
	s_or_b64 exec, exec, s[52:53]
	v_cndmask_b32_e64 v17, 0, 1, s[46:47]
	v_cmp_ne_u32_e32 vcc, 0, v17
	buffer_load_dword v17, off, s[96:99], 0 offset:52 ; 4-byte Folded Reload
	buffer_load_dword v31, off, s[96:99], 0 offset:48 ; 4-byte Folded Reload
	v_cndmask_b32_e64 v32, 0, 1, s[0:1]
	s_waitcnt vmcnt(1)
	v_xor_b32_e32 v17, vcc_hi, v17
	s_waitcnt vmcnt(0)
	v_xor_b32_e32 v31, vcc_lo, v31
	v_cmp_ne_u32_e32 vcc, 0, v32
	v_and_b32_e32 v17, exec_hi, v17
	v_xor_b32_e32 v32, vcc_hi, v100
	v_and_b32_e32 v17, v17, v32
	v_cndmask_b32_e64 v32, 0, 1, s[2:3]
	v_xor_b32_e32 v33, vcc_lo, v12
	v_cmp_ne_u32_e32 vcc, 0, v32
	v_xor_b32_e32 v32, vcc_hi, v101
	v_and_b32_e32 v31, exec_lo, v31
	v_and_b32_e32 v17, v17, v32
	v_cndmask_b32_e64 v32, 0, 1, s[4:5]
	v_and_b32_e32 v31, v31, v33
	v_xor_b32_e32 v33, vcc_lo, v13
	v_cmp_ne_u32_e32 vcc, 0, v32
	v_xor_b32_e32 v32, vcc_hi, v102
	v_and_b32_e32 v17, v17, v32
	v_cndmask_b32_e64 v32, 0, 1, s[6:7]
	v_and_b32_e32 v31, v31, v33
	v_xor_b32_e32 v33, vcc_lo, v14
	v_cmp_ne_u32_e32 vcc, 0, v32
	v_xor_b32_e32 v32, vcc_hi, v103
	;; [unrolled: 6-line block ×5, first 2 shown]
	v_and_b32_e32 v17, v17, v32
	v_cndmask_b32_e64 v32, 0, 1, s[14:15]
	v_and_b32_e32 v31, v31, v33
	v_xor_b32_e32 v33, vcc_lo, v21
	v_cmp_ne_u32_e32 vcc, 0, v32
	v_and_b32_e32 v31, v31, v33
	v_xor_b32_e32 v33, vcc_lo, v22
	v_xor_b32_e32 v32, vcc_hi, v107
	v_and_b32_e32 v31, v31, v33
	v_and_b32_e32 v17, v17, v32
	v_mbcnt_lo_u32_b32 v32, v31, 0
	v_mbcnt_hi_u32_b32 v32, v17, v32
	v_cmp_eq_u32_e32 vcc, 0, v32
	s_and_saveexec_b64 s[52:53], vcc
	s_cbranch_execz .LBB28_18
; %bb.17:                               ;   in Loop: Header=BB28_2 Depth=1
	v_bcnt_u32_b32 v31, v31, 0
	v_bcnt_u32_b32 v31, v17, v31
	buffer_load_dword v17, off, s[96:99], 0 offset:116 ; 4-byte Folded Reload
	v_mov_b32_e32 v32, v16
	s_waitcnt vmcnt(0)
	ds_add_u64 v17, v[31:32]
.LBB28_18:                              ;   in Loop: Header=BB28_2 Depth=1
	s_or_b64 exec, exec, s[52:53]
	v_cndmask_b32_e64 v17, 0, 1, s[48:49]
	v_cmp_ne_u32_e32 vcc, 0, v17
	buffer_load_dword v17, off, s[96:99], 0 offset:60 ; 4-byte Folded Reload
	buffer_load_dword v31, off, s[96:99], 0 offset:56 ; 4-byte Folded Reload
	v_cndmask_b32_e64 v32, 0, 1, s[16:17]
	s_waitcnt vmcnt(1)
	v_xor_b32_e32 v17, vcc_hi, v17
	s_waitcnt vmcnt(0)
	v_xor_b32_e32 v31, vcc_lo, v31
	v_cmp_ne_u32_e32 vcc, 0, v32
	v_and_b32_e32 v17, exec_hi, v17
	v_xor_b32_e32 v32, vcc_hi, v108
	v_and_b32_e32 v17, v17, v32
	v_cndmask_b32_e64 v32, 0, 1, s[18:19]
	v_xor_b32_e32 v33, vcc_lo, v23
	v_cmp_ne_u32_e32 vcc, 0, v32
	v_xor_b32_e32 v32, vcc_hi, v109
	v_and_b32_e32 v31, exec_lo, v31
	v_and_b32_e32 v17, v17, v32
	v_cndmask_b32_e64 v32, 0, 1, s[20:21]
	v_and_b32_e32 v31, v31, v33
	v_xor_b32_e32 v33, vcc_lo, v24
	v_cmp_ne_u32_e32 vcc, 0, v32
	v_xor_b32_e32 v32, vcc_hi, v110
	v_and_b32_e32 v17, v17, v32
	v_cndmask_b32_e64 v32, 0, 1, s[22:23]
	v_and_b32_e32 v31, v31, v33
	v_xor_b32_e32 v33, vcc_lo, v25
	v_cmp_ne_u32_e32 vcc, 0, v32
	v_xor_b32_e32 v32, vcc_hi, v111
	v_and_b32_e32 v17, v17, v32
	v_cndmask_b32_e64 v32, 0, 1, s[24:25]
	v_and_b32_e32 v31, v31, v33
	v_xor_b32_e32 v33, vcc_lo, v26
	v_cmp_ne_u32_e32 vcc, 0, v32
	v_xor_b32_e32 v32, vcc_hi, v112
	v_and_b32_e32 v17, v17, v32
	v_cndmask_b32_e64 v32, 0, 1, s[26:27]
	v_and_b32_e32 v31, v31, v33
	v_xor_b32_e32 v33, vcc_lo, v27
	v_cmp_ne_u32_e32 vcc, 0, v32
	v_xor_b32_e32 v32, vcc_hi, v113
	v_and_b32_e32 v17, v17, v32
	v_cndmask_b32_e64 v32, 0, 1, s[28:29]
	v_and_b32_e32 v31, v31, v33
	v_xor_b32_e32 v33, vcc_lo, v28
	v_cmp_ne_u32_e32 vcc, 0, v32
	v_xor_b32_e32 v32, vcc_hi, v114
	v_and_b32_e32 v17, v17, v32
	v_cndmask_b32_e64 v32, 0, 1, s[50:51]
	v_and_b32_e32 v31, v31, v33
	v_xor_b32_e32 v33, vcc_lo, v29
	v_cmp_ne_u32_e32 vcc, 0, v32
	v_and_b32_e32 v31, v31, v33
	v_xor_b32_e32 v33, vcc_lo, v30
	v_xor_b32_e32 v32, vcc_hi, v115
	v_and_b32_e32 v31, v31, v33
	v_and_b32_e32 v17, v17, v32
	v_mbcnt_lo_u32_b32 v32, v31, 0
	v_mbcnt_hi_u32_b32 v32, v17, v32
	v_cmp_eq_u32_e32 vcc, 0, v32
	s_and_saveexec_b64 s[52:53], vcc
	s_cbranch_execz .LBB28_1
; %bb.19:                               ;   in Loop: Header=BB28_2 Depth=1
	v_bcnt_u32_b32 v31, v31, 0
	v_bcnt_u32_b32 v31, v17, v31
	buffer_load_dword v17, off, s[96:99], 0 offset:120 ; 4-byte Folded Reload
	v_mov_b32_e32 v32, v16
	s_waitcnt vmcnt(0)
	ds_add_u64 v17, v[31:32]
	s_branch .LBB28_1
.LBB28_20:
	s_and_saveexec_b64 s[0:1], s[34:35]
	s_cbranch_execz .LBB28_22
; %bb.21:
	buffer_load_dword v0, off, s[96:99], 0 offset:124 ; 4-byte Folded Reload
	buffer_load_dword v1, off, s[96:99], 0 offset:128 ; 4-byte Folded Reload
	;; [unrolled: 1-line block ×3, first 2 shown]
	s_waitcnt vmcnt(1)
	v_mov_b32_e32 v1, 0
	v_readlane_b32 s0, v127, 0
	v_readlane_b32 s2, v127, 2
	;; [unrolled: 1-line block ×3, first 2 shown]
	v_mov_b32_e32 v4, s3
	v_readlane_b32 s1, v127, 1
	v_lshlrev_b64 v[0:1], 3, v[0:1]
	s_waitcnt vmcnt(0)
	ds_read_b64 v[2:3], v2
	v_add_co_u32_e32 v0, vcc, s2, v0
	v_addc_co_u32_e32 v1, vcc, v4, v1, vcc
	s_waitcnt lgkmcnt(0)
	global_store_dwordx2 v[0:1], v[2:3], off
.LBB28_22:
	s_endpgm
	.section	.rodata,"a",@progbits
	.p2align	6, 0x0
	.amdhsa_kernel _Z6kernelI9histogramILN6hipcub23BlockHistogramAlgorithmE0EEyLj320ELj8ELj320ELj100EEvPKT0_PS4_
		.amdhsa_group_segment_fixed_size 2560
		.amdhsa_private_segment_fixed_size 136
		.amdhsa_kernarg_size 16
		.amdhsa_user_sgpr_count 6
		.amdhsa_user_sgpr_private_segment_buffer 1
		.amdhsa_user_sgpr_dispatch_ptr 0
		.amdhsa_user_sgpr_queue_ptr 0
		.amdhsa_user_sgpr_kernarg_segment_ptr 1
		.amdhsa_user_sgpr_dispatch_id 0
		.amdhsa_user_sgpr_flat_scratch_init 0
		.amdhsa_user_sgpr_private_segment_size 0
		.amdhsa_uses_dynamic_stack 0
		.amdhsa_system_sgpr_private_segment_wavefront_offset 1
		.amdhsa_system_sgpr_workgroup_id_x 1
		.amdhsa_system_sgpr_workgroup_id_y 0
		.amdhsa_system_sgpr_workgroup_id_z 0
		.amdhsa_system_sgpr_workgroup_info 0
		.amdhsa_system_vgpr_workitem_id 0
		.amdhsa_next_free_vgpr 128
		.amdhsa_next_free_sgpr 100
		.amdhsa_reserve_vcc 1
		.amdhsa_reserve_flat_scratch 0
		.amdhsa_float_round_mode_32 0
		.amdhsa_float_round_mode_16_64 0
		.amdhsa_float_denorm_mode_32 3
		.amdhsa_float_denorm_mode_16_64 3
		.amdhsa_dx10_clamp 1
		.amdhsa_ieee_mode 1
		.amdhsa_fp16_overflow 0
		.amdhsa_exception_fp_ieee_invalid_op 0
		.amdhsa_exception_fp_denorm_src 0
		.amdhsa_exception_fp_ieee_div_zero 0
		.amdhsa_exception_fp_ieee_overflow 0
		.amdhsa_exception_fp_ieee_underflow 0
		.amdhsa_exception_fp_ieee_inexact 0
		.amdhsa_exception_int_div_zero 0
	.end_amdhsa_kernel
	.section	.text._Z6kernelI9histogramILN6hipcub23BlockHistogramAlgorithmE0EEyLj320ELj8ELj320ELj100EEvPKT0_PS4_,"axG",@progbits,_Z6kernelI9histogramILN6hipcub23BlockHistogramAlgorithmE0EEyLj320ELj8ELj320ELj100EEvPKT0_PS4_,comdat
.Lfunc_end28:
	.size	_Z6kernelI9histogramILN6hipcub23BlockHistogramAlgorithmE0EEyLj320ELj8ELj320ELj100EEvPKT0_PS4_, .Lfunc_end28-_Z6kernelI9histogramILN6hipcub23BlockHistogramAlgorithmE0EEyLj320ELj8ELj320ELj100EEvPKT0_PS4_
                                        ; -- End function
	.set _Z6kernelI9histogramILN6hipcub23BlockHistogramAlgorithmE0EEyLj320ELj8ELj320ELj100EEvPKT0_PS4_.num_vgpr, 128
	.set _Z6kernelI9histogramILN6hipcub23BlockHistogramAlgorithmE0EEyLj320ELj8ELj320ELj100EEvPKT0_PS4_.num_agpr, 0
	.set _Z6kernelI9histogramILN6hipcub23BlockHistogramAlgorithmE0EEyLj320ELj8ELj320ELj100EEvPKT0_PS4_.numbered_sgpr, 100
	.set _Z6kernelI9histogramILN6hipcub23BlockHistogramAlgorithmE0EEyLj320ELj8ELj320ELj100EEvPKT0_PS4_.num_named_barrier, 0
	.set _Z6kernelI9histogramILN6hipcub23BlockHistogramAlgorithmE0EEyLj320ELj8ELj320ELj100EEvPKT0_PS4_.private_seg_size, 136
	.set _Z6kernelI9histogramILN6hipcub23BlockHistogramAlgorithmE0EEyLj320ELj8ELj320ELj100EEvPKT0_PS4_.uses_vcc, 1
	.set _Z6kernelI9histogramILN6hipcub23BlockHistogramAlgorithmE0EEyLj320ELj8ELj320ELj100EEvPKT0_PS4_.uses_flat_scratch, 0
	.set _Z6kernelI9histogramILN6hipcub23BlockHistogramAlgorithmE0EEyLj320ELj8ELj320ELj100EEvPKT0_PS4_.has_dyn_sized_stack, 0
	.set _Z6kernelI9histogramILN6hipcub23BlockHistogramAlgorithmE0EEyLj320ELj8ELj320ELj100EEvPKT0_PS4_.has_recursion, 0
	.set _Z6kernelI9histogramILN6hipcub23BlockHistogramAlgorithmE0EEyLj320ELj8ELj320ELj100EEvPKT0_PS4_.has_indirect_call, 0
	.section	.AMDGPU.csdata,"",@progbits
; Kernel info:
; codeLenInByte = 6128
; TotalNumSgprs: 104
; NumVgprs: 128
; ScratchSize: 136
; MemoryBound: 0
; FloatMode: 240
; IeeeMode: 1
; LDSByteSize: 2560 bytes/workgroup (compile time only)
; SGPRBlocks: 12
; VGPRBlocks: 31
; NumSGPRsForWavesPerEU: 104
; NumVGPRsForWavesPerEU: 128
; Occupancy: 2
; WaveLimiterHint : 0
; COMPUTE_PGM_RSRC2:SCRATCH_EN: 1
; COMPUTE_PGM_RSRC2:USER_SGPR: 6
; COMPUTE_PGM_RSRC2:TRAP_HANDLER: 0
; COMPUTE_PGM_RSRC2:TGID_X_EN: 1
; COMPUTE_PGM_RSRC2:TGID_Y_EN: 0
; COMPUTE_PGM_RSRC2:TGID_Z_EN: 0
; COMPUTE_PGM_RSRC2:TIDIG_COMP_CNT: 0
	.section	.text._Z6kernelI9histogramILN6hipcub23BlockHistogramAlgorithmE0EEyLj320ELj16ELj320ELj100EEvPKT0_PS4_,"axG",@progbits,_Z6kernelI9histogramILN6hipcub23BlockHistogramAlgorithmE0EEyLj320ELj16ELj320ELj100EEvPKT0_PS4_,comdat
	.protected	_Z6kernelI9histogramILN6hipcub23BlockHistogramAlgorithmE0EEyLj320ELj16ELj320ELj100EEvPKT0_PS4_ ; -- Begin function _Z6kernelI9histogramILN6hipcub23BlockHistogramAlgorithmE0EEyLj320ELj16ELj320ELj100EEvPKT0_PS4_
	.globl	_Z6kernelI9histogramILN6hipcub23BlockHistogramAlgorithmE0EEyLj320ELj16ELj320ELj100EEvPKT0_PS4_
	.p2align	8
	.type	_Z6kernelI9histogramILN6hipcub23BlockHistogramAlgorithmE0EEyLj320ELj16ELj320ELj100EEvPKT0_PS4_,@function
_Z6kernelI9histogramILN6hipcub23BlockHistogramAlgorithmE0EEyLj320ELj16ELj320ELj100EEvPKT0_PS4_: ; @_Z6kernelI9histogramILN6hipcub23BlockHistogramAlgorithmE0EEyLj320ELj16ELj320ELj100EEvPKT0_PS4_
; %bb.0:
	s_mov_b64 s[98:99], s[2:3]
	s_mov_b64 s[96:97], s[0:1]
	v_mov_b32_e32 v41, v0
	s_mulk_i32 s6, 0x140
	s_add_u32 s96, s96, s7
	v_add_u32_e32 v1, s6, v41
	s_addc_u32 s97, s97, 0
	v_mov_b32_e32 v0, v1
	buffer_store_dword v0, off, s[96:99], 0 offset:820 ; 4-byte Folded Spill
	s_nop 0
	buffer_store_dword v1, off, s[96:99], 0 offset:824 ; 4-byte Folded Spill
	s_load_dwordx4 s[0:3], s[4:5], 0x0
	v_mov_b32_e32 v17, 0
                                        ; implicit-def: $vgpr124 : SGPR spill to VGPR lane
                                        ; implicit-def: $vgpr125 : SGPR spill to VGPR lane
                                        ; implicit-def: $vgpr126 : SGPR spill to VGPR lane
                                        ; implicit-def: $vgpr127 : SGPR spill to VGPR lane
	s_movk_i32 s33, 0x64
	s_waitcnt lgkmcnt(0)
	v_mov_b32_e32 v2, s1
	v_writelane_b32 v124, s0, 0
	v_writelane_b32 v124, s1, 1
	v_writelane_b32 v124, s2, 2
	v_writelane_b32 v124, s3, 3
	v_lshlrev_b32_e32 v0, 4, v1
	v_mov_b32_e32 v1, v17
	v_lshlrev_b64 v[0:1], 3, v[0:1]
	v_add_co_u32_e32 v19, vcc, s0, v0
	v_addc_co_u32_e32 v20, vcc, v2, v1, vcc
	global_load_dwordx4 v[9:12], v[19:20], off
	global_load_dwordx4 v[5:8], v[19:20], off offset:16
	global_load_dwordx4 v[1:4], v[19:20], off offset:32
	;; [unrolled: 1-line block ×3, first 2 shown]
	s_waitcnt vmcnt(3)
	v_lshlrev_b32_e32 v18, 30, v9
	v_cmp_gt_i64_e64 s[0:1], 0, v[17:18]
	v_not_b32_e32 v0, v18
	v_writelane_b32 v124, s0, 4
	v_lshlrev_b32_e32 v18, 29, v9
	v_writelane_b32 v124, s1, 5
	v_cmp_gt_i64_e64 s[0:1], 0, v[17:18]
	buffer_store_dword v0, off, s[96:99], 0 ; 4-byte Folded Spill
	v_writelane_b32 v124, s0, 6
	v_not_b32_e32 v0, v18
	v_lshlrev_b32_e32 v18, 28, v9
	v_writelane_b32 v124, s1, 7
	v_cmp_gt_i64_e64 s[0:1], 0, v[17:18]
	buffer_store_dword v0, off, s[96:99], 0 offset:4 ; 4-byte Folded Spill
	v_writelane_b32 v124, s0, 8
	v_not_b32_e32 v0, v18
	v_lshlrev_b32_e32 v18, 27, v9
	v_writelane_b32 v124, s1, 9
	v_cmp_gt_i64_e64 s[0:1], 0, v[17:18]
	buffer_store_dword v0, off, s[96:99], 0 offset:8 ; 4-byte Folded Spill
	;; [unrolled: 6-line block ×14, first 2 shown]
	v_writelane_b32 v124, s0, 34
	v_not_b32_e32 v0, v18
	s_waitcnt vmcnt(17)
	v_lshlrev_b32_e32 v18, 30, v5
	v_writelane_b32 v124, s1, 35
	v_cmp_gt_i64_e64 s[0:1], 0, v[17:18]
	v_not_b32_e32 v16, v18
	v_writelane_b32 v124, s0, 36
	v_lshlrev_b32_e32 v18, 29, v5
	v_writelane_b32 v124, s1, 37
	v_cmp_gt_i64_e64 s[0:1], 0, v[17:18]
	v_not_b32_e32 v28, v18
	v_writelane_b32 v124, s0, 38
	;; [unrolled: 5-line block ×16, first 2 shown]
	s_waitcnt vmcnt(16)
	v_lshlrev_b32_e32 v18, 30, v1
	v_writelane_b32 v125, s1, 3
	v_cmp_gt_i64_e64 s[0:1], 0, v[17:18]
	v_not_b32_e32 v44, v18
	v_writelane_b32 v125, s0, 4
	v_lshlrev_b32_e32 v18, 29, v1
	v_writelane_b32 v125, s1, 5
	v_cmp_gt_i64_e64 s[0:1], 0, v[17:18]
	v_not_b32_e32 v45, v18
	v_writelane_b32 v125, s0, 6
	;; [unrolled: 5-line block ×4, first 2 shown]
	v_lshlrev_b32_e32 v18, 26, v1
	buffer_store_dword v0, off, s[96:99], 0 offset:60 ; 4-byte Folded Spill
	v_writelane_b32 v125, s1, 11
	v_cmp_gt_i64_e64 s[0:1], 0, v[17:18]
	v_and_b32_e32 v0, 1, v9
	buffer_store_dword v0, off, s[96:99], 0 offset:64 ; 4-byte Folded Spill
	v_lshlrev_b32_e32 v0, 3, v9
	v_writelane_b32 v125, s0, 12
	v_not_b32_e32 v48, v18
	v_lshlrev_b32_e32 v18, 25, v1
	buffer_store_dword v0, off, s[96:99], 0 offset:680 ; 4-byte Folded Spill
	v_and_b32_e32 v0, 1, v11
	v_writelane_b32 v125, s1, 13
	v_cmp_gt_i64_e64 s[0:1], 0, v[17:18]
	buffer_store_dword v0, off, s[96:99], 0 offset:68 ; 4-byte Folded Spill
	v_lshlrev_b32_e32 v0, 3, v11
	global_load_dwordx4 v[8:11], v[19:20], off offset:64
	v_writelane_b32 v125, s0, 14
	v_not_b32_e32 v49, v18
	v_lshlrev_b32_e32 v18, 24, v1
	v_writelane_b32 v125, s1, 15
	v_cmp_gt_i64_e64 s[0:1], 0, v[17:18]
	v_not_b32_e32 v59, v18
	v_writelane_b32 v125, s0, 16
	v_lshlrev_b32_e32 v18, 23, v1
	v_writelane_b32 v125, s1, 17
	v_cmp_gt_i64_e64 s[0:1], 0, v[17:18]
	v_not_b32_e32 v60, v18
	v_writelane_b32 v125, s0, 18
	;; [unrolled: 5-line block ×10, first 2 shown]
	s_waitcnt vmcnt(20)
	v_lshlrev_b32_e32 v18, 30, v12
	v_writelane_b32 v125, s1, 35
	v_cmp_gt_i64_e64 s[0:1], 0, v[17:18]
	v_not_b32_e32 v15, v18
	v_writelane_b32 v125, s0, 36
	v_lshlrev_b32_e32 v18, 29, v12
	v_writelane_b32 v125, s1, 37
	v_cmp_gt_i64_e64 s[0:1], 0, v[17:18]
	v_not_b32_e32 v91, v18
	v_writelane_b32 v125, s0, 38
	;; [unrolled: 5-line block ×4, first 2 shown]
	v_lshlrev_b32_e32 v18, 26, v12
	v_writelane_b32 v125, s1, 43
	v_cmp_gt_i64_e64 s[0:1], 0, v[17:18]
	buffer_store_dword v0, off, s[96:99], 0 offset:684 ; 4-byte Folded Spill
	v_and_b32_e32 v0, 1, v5
	buffer_store_dword v0, off, s[96:99], 0 offset:72 ; 4-byte Folded Spill
	v_lshlrev_b32_e32 v0, 3, v5
	v_not_b32_e32 v94, v18
	v_writelane_b32 v125, s0, 44
	v_lshlrev_b32_e32 v18, 25, v12
	buffer_store_dword v0, off, s[96:99], 0 offset:688 ; 4-byte Folded Spill
	v_and_b32_e32 v0, 1, v7
	v_writelane_b32 v125, s1, 45
	v_cmp_gt_i64_e64 s[0:1], 0, v[17:18]
	buffer_store_dword v0, off, s[96:99], 0 offset:76 ; 4-byte Folded Spill
	v_lshlrev_b32_e32 v0, 3, v7
	global_load_dwordx4 v[4:7], v[19:20], off offset:80
	v_not_b32_e32 v95, v18
	v_writelane_b32 v125, s0, 46
	v_lshlrev_b32_e32 v18, 24, v12
	v_writelane_b32 v125, s1, 47
	v_cmp_gt_i64_e64 s[0:1], 0, v[17:18]
	v_not_b32_e32 v96, v18
	v_writelane_b32 v125, s0, 48
	v_lshlrev_b32_e32 v18, 23, v12
	v_writelane_b32 v125, s1, 49
	v_cmp_gt_i64_e64 s[0:1], 0, v[17:18]
	;; [unrolled: 5-line block ×10, first 2 shown]
	v_not_b32_e32 v105, v18
	v_writelane_b32 v126, s0, 2
	s_waitcnt vmcnt(5)
	v_lshlrev_b32_e32 v18, 30, v8
	v_writelane_b32 v126, s1, 3
	v_cmp_gt_i64_e64 s[0:1], 0, v[17:18]
	v_not_b32_e32 v106, v18
	v_writelane_b32 v126, s0, 4
	v_lshlrev_b32_e32 v18, 29, v8
	v_writelane_b32 v126, s1, 5
	v_cmp_gt_i64_e64 s[0:1], 0, v[17:18]
	v_not_b32_e32 v107, v18
	v_writelane_b32 v126, s0, 6
	;; [unrolled: 5-line block ×14, first 2 shown]
	v_lshlrev_b32_e32 v18, 24, v10
	v_writelane_b32 v126, s1, 31
	v_cmp_gt_i64_e64 s[0:1], 0, v[17:18]
	buffer_store_dword v0, off, s[96:99], 0 offset:692 ; 4-byte Folded Spill
	v_and_b32_e32 v0, 1, v1
	v_not_b32_e32 v120, v18
	v_writelane_b32 v126, s0, 32
	v_lshlrev_b32_e32 v18, 23, v10
	buffer_store_dword v0, off, s[96:99], 0 offset:80 ; 4-byte Folded Spill
	v_lshlrev_b32_e32 v0, 3, v1
	v_writelane_b32 v126, s1, 33
	v_cmp_gt_i64_e64 s[0:1], 0, v[17:18]
	buffer_store_dword v0, off, s[96:99], 0 offset:696 ; 4-byte Folded Spill
	v_and_b32_e32 v0, 1, v3
	buffer_store_dword v0, off, s[96:99], 0 offset:84 ; 4-byte Folded Spill
	v_and_b32_e32 v0, 1, v12
	v_not_b32_e32 v121, v18
	v_writelane_b32 v126, s0, 34
	s_waitcnt vmcnt(4)
	v_lshlrev_b32_e32 v18, 30, v4
	buffer_store_dword v0, off, s[96:99], 0 offset:88 ; 4-byte Folded Spill
	v_lshlrev_b32_e32 v0, 3, v12
	v_writelane_b32 v126, s1, 35
	v_cmp_gt_i64_e64 s[0:1], 0, v[17:18]
	buffer_store_dword v0, off, s[96:99], 0 offset:700 ; 4-byte Folded Spill
	v_and_b32_e32 v0, 1, v14
	buffer_store_dword v0, off, s[96:99], 0 offset:92 ; 4-byte Folded Spill
	v_and_b32_e32 v0, 1, v8
	v_not_b32_e32 v122, v18
	v_writelane_b32 v126, s0, 36
	v_lshlrev_b32_e32 v18, 29, v4
	buffer_store_dword v0, off, s[96:99], 0 offset:96 ; 4-byte Folded Spill
	v_lshlrev_b32_e32 v0, 3, v8
	v_writelane_b32 v126, s1, 37
	v_cmp_gt_i64_e64 s[0:1], 0, v[17:18]
	buffer_store_dword v0, off, s[96:99], 0 offset:704 ; 4-byte Folded Spill
	v_and_b32_e32 v0, 1, v10
	buffer_store_dword v0, off, s[96:99], 0 offset:100 ; 4-byte Folded Spill
	v_lshlrev_b32_e32 v0, 3, v3
	v_not_b32_e32 v123, v18
	v_writelane_b32 v126, s0, 38
	v_lshlrev_b32_e32 v18, 28, v4
	buffer_store_dword v0, off, s[96:99], 0 offset:708 ; 4-byte Folded Spill
	v_lshlrev_b32_e32 v0, 3, v14
	v_writelane_b32 v126, s1, 39
	v_cmp_gt_i64_e64 s[0:1], 0, v[17:18]
	buffer_store_dword v0, off, s[96:99], 0 offset:712 ; 4-byte Folded Spill
	v_lshlrev_b32_e32 v0, 3, v10
	buffer_store_dword v0, off, s[96:99], 0 offset:716 ; 4-byte Folded Spill
	v_not_b32_e32 v0, v18
	v_writelane_b32 v126, s0, 40
	v_lshlrev_b32_e32 v18, 27, v4
	v_writelane_b32 v126, s1, 41
	v_cmp_gt_i64_e64 s[0:1], 0, v[17:18]
	buffer_store_dword v0, off, s[96:99], 0 offset:104 ; 4-byte Folded Spill
	v_not_b32_e32 v0, v18
	v_writelane_b32 v126, s0, 42
	v_lshlrev_b32_e32 v18, 26, v4
	v_writelane_b32 v126, s1, 43
	v_cmp_gt_i64_e64 s[0:1], 0, v[17:18]
	;; [unrolled: 6-line block ×10, first 2 shown]
	buffer_store_dword v0, off, s[96:99], 0 offset:148 ; 4-byte Folded Spill
	v_not_b32_e32 v0, v18
	v_writelane_b32 v126, s0, 60
	v_lshlrev_b32_e32 v18, 25, v6
	buffer_store_dword v0, off, s[96:99], 0 offset:152 ; 4-byte Folded Spill
	v_writelane_b32 v126, s1, 61
	v_cmp_gt_i64_e64 s[0:1], 0, v[17:18]
	v_not_b32_e32 v0, v18
	v_lshlrev_b32_e32 v18, 24, v6
	buffer_store_dword v0, off, s[96:99], 0 offset:156 ; 4-byte Folded Spill
	v_not_b32_e32 v0, v18
	buffer_store_dword v0, off, s[96:99], 0 offset:160 ; 4-byte Folded Spill
	v_and_b32_e32 v0, 1, v4
	buffer_store_dword v0, off, s[96:99], 0 offset:140 ; 4-byte Folded Spill
	v_lshlrev_b32_e32 v0, 3, v4
	v_writelane_b32 v126, s0, 62
	buffer_store_dword v0, off, s[96:99], 0 offset:720 ; 4-byte Folded Spill
	v_and_b32_e32 v0, 1, v6
	v_writelane_b32 v126, s1, 63
	v_cmp_gt_i64_e64 s[0:1], 0, v[17:18]
	v_lshlrev_b32_e32 v18, 23, v6
	buffer_store_dword v0, off, s[96:99], 0 offset:144 ; 4-byte Folded Spill
	v_lshlrev_b32_e32 v0, 3, v6
	buffer_store_dword v0, off, s[96:99], 0 offset:724 ; 4-byte Folded Spill
	v_not_b32_e32 v0, v18
	buffer_store_dword v0, off, s[96:99], 0 offset:164 ; 4-byte Folded Spill
	global_load_dwordx4 v[0:3], v[19:20], off offset:96
	v_writelane_b32 v127, s0, 0
	v_writelane_b32 v127, s1, 1
	v_cmp_gt_i64_e64 s[0:1], 0, v[17:18]
	v_ashrrev_i32_e32 v75, 31, v37
	v_writelane_b32 v127, s0, 2
	v_writelane_b32 v127, s1, 3
	v_ashrrev_i32_e32 v37, 31, v90
	v_ashrrev_i32_e32 v90, 31, v15
	;; [unrolled: 1-line block ×65, first 2 shown]
	s_waitcnt vmcnt(0)
	v_lshlrev_b32_e32 v18, 30, v0
	v_cmp_gt_i64_e64 s[0:1], 0, v[17:18]
	v_not_b32_e32 v1, v18
	v_writelane_b32 v127, s0, 4
	v_lshlrev_b32_e32 v18, 29, v0
	v_writelane_b32 v127, s1, 5
	v_cmp_gt_i64_e64 s[0:1], 0, v[17:18]
	buffer_store_dword v1, off, s[96:99], 0 offset:168 ; 4-byte Folded Spill
	v_writelane_b32 v127, s0, 6
	v_not_b32_e32 v1, v18
	v_lshlrev_b32_e32 v18, 28, v0
	v_writelane_b32 v127, s1, 7
	v_cmp_gt_i64_e64 s[0:1], 0, v[17:18]
	buffer_store_dword v1, off, s[96:99], 0 offset:172 ; 4-byte Folded Spill
	v_writelane_b32 v127, s0, 8
	v_not_b32_e32 v1, v18
	;; [unrolled: 6-line block ×11, first 2 shown]
	v_lshlrev_b32_e32 v18, 26, v2
	v_writelane_b32 v127, s1, 27
	buffer_store_dword v1, off, s[96:99], 0 offset:220 ; 4-byte Folded Spill
	v_cmp_gt_i64_e64 s[0:1], 0, v[17:18]
	v_not_b32_e32 v1, v18
	v_lshlrev_b32_e32 v18, 25, v2
	buffer_store_dword v1, off, s[96:99], 0 offset:224 ; 4-byte Folded Spill
	v_cmp_gt_i64_e64 s[28:29], 0, v[17:18]
	v_not_b32_e32 v1, v18
	v_lshlrev_b32_e32 v18, 24, v2
	buffer_store_dword v1, off, s[96:99], 0 offset:228 ; 4-byte Folded Spill
	v_not_b32_e32 v1, v18
	buffer_store_dword v1, off, s[96:99], 0 offset:232 ; 4-byte Folded Spill
	v_and_b32_e32 v1, 1, v0
	v_lshlrev_b32_e32 v0, 3, v0
	buffer_store_dword v0, off, s[96:99], 0 offset:728 ; 4-byte Folded Spill
	v_and_b32_e32 v0, 1, v2
	v_cmp_gt_i64_e64 s[30:31], 0, v[17:18]
	v_lshlrev_b32_e32 v18, 23, v2
	buffer_store_dword v0, off, s[96:99], 0 offset:180 ; 4-byte Folded Spill
	v_lshlrev_b32_e32 v0, 3, v2
	buffer_store_dword v0, off, s[96:99], 0 offset:732 ; 4-byte Folded Spill
	v_not_b32_e32 v0, v18
	buffer_store_dword v1, off, s[96:99], 0 offset:184 ; 4-byte Folded Spill
	buffer_store_dword v0, off, s[96:99], 0 offset:236 ; 4-byte Folded Spill
	global_load_dwordx4 v[0:3], v[19:20], off offset:112
	v_cmp_gt_i64_e64 s[34:35], 0, v[17:18]
	v_writelane_b32 v127, s0, 28
	v_writelane_b32 v127, s1, 29
	s_movk_i32 s0, 0x140
	v_cmp_gt_u32_e64 s[66:67], s0, v41
	s_waitcnt vmcnt(0)
	v_lshlrev_b32_e32 v18, 30, v0
	v_cmp_gt_i64_e64 s[36:37], 0, v[17:18]
	v_not_b32_e32 v58, v18
	v_lshlrev_b32_e32 v18, 29, v0
	v_cmp_gt_i64_e64 s[38:39], 0, v[17:18]
	v_not_b32_e32 v57, v18
	;; [unrolled: 3-line block ×14, first 2 shown]
	v_lshlrev_b32_e32 v18, 24, v2
	v_and_b32_e32 v1, 1, v0
	v_lshlrev_b32_e32 v0, 3, v0
	v_cmp_gt_i64_e64 s[64:65], 0, v[17:18]
	v_not_b32_e32 v20, v18
	v_lshlrev_b32_e32 v18, 23, v2
	buffer_store_dword v0, off, s[96:99], 0 offset:736 ; 4-byte Folded Spill
	v_and_b32_e32 v0, 1, v2
	v_lshlrev_b32_e32 v2, 3, v2
	buffer_store_dword v2, off, s[96:99], 0 offset:740 ; 4-byte Folded Spill
	v_lshlrev_b32_e32 v2, 3, v41
	buffer_store_dword v2, off, s[96:99], 0 offset:676 ; 4-byte Folded Spill
	buffer_load_dword v2, off, s[96:99], 0  ; 4-byte Folded Reload
	v_ashrrev_i32_e32 v58, 31, v58
	v_ashrrev_i32_e32 v57, 31, v57
	v_ashrrev_i32_e32 v56, 31, v56
	v_ashrrev_i32_e32 v54, 31, v54
	v_ashrrev_i32_e32 v55, 31, v55
	s_waitcnt vmcnt(0)
	v_ashrrev_i32_e32 v41, 31, v2
	buffer_load_dword v2, off, s[96:99], 0 offset:4 ; 4-byte Folded Reload
	s_waitcnt vmcnt(0)
	v_ashrrev_i32_e32 v3, 31, v2
	buffer_load_dword v2, off, s[96:99], 0 offset:8 ; 4-byte Folded Reload
	;; [unrolled: 3-line block ×38, first 2 shown]
	s_waitcnt vmcnt(0)
	v_ashrrev_i32_e32 v2, 31, v2
	buffer_store_dword v2, off, s[96:99], 0 offset:788 ; 4-byte Folded Spill
	buffer_load_dword v2, off, s[96:99], 0 offset:212 ; 4-byte Folded Reload
	s_waitcnt vmcnt(0)
	v_ashrrev_i32_e32 v2, 31, v2
	buffer_store_dword v2, off, s[96:99], 0 offset:792 ; 4-byte Folded Spill
	buffer_load_dword v2, off, s[96:99], 0 offset:216 ; 4-byte Folded Reload
	;; [unrolled: 4-line block ×7, first 2 shown]
	s_waitcnt vmcnt(0)
	v_ashrrev_i32_e32 v2, 31, v2
	buffer_store_dword v2, off, s[96:99], 0 offset:816 ; 4-byte Folded Spill
	v_ashrrev_i32_e32 v2, 31, v53
	buffer_store_dword v2, off, s[96:99], 0 offset:776 ; 4-byte Folded Spill
	;; [unrolled: 2-line block ×11, first 2 shown]
	v_not_b32_e32 v2, v18
	v_ashrrev_i32_e32 v2, 31, v2
	buffer_store_dword v2, off, s[96:99], 0 offset:768 ; 4-byte Folded Spill
	buffer_load_dword v20, off, s[96:99], 0 offset:64 ; 4-byte Folded Reload
	v_mov_b32_e32 v51, v62
	buffer_load_dword v2, off, s[96:99], 0 offset:68 ; 4-byte Folded Reload
	v_mov_b32_e32 v21, v56
	v_mov_b32_e32 v23, v54
	;; [unrolled: 1-line block ×4, first 2 shown]
	s_waitcnt vmcnt(1)
	v_cmp_eq_u32_e64 s[68:69], 1, v20
	s_waitcnt vmcnt(0)
	v_cmp_eq_u32_e64 s[70:71], 1, v2
	v_add_co_u32_e64 v2, s[6:7], -1, v2
	buffer_store_dword v2, off, s[96:99], 0 offset:284 ; 4-byte Folded Spill
	buffer_load_dword v2, off, s[96:99], 0 offset:72 ; 4-byte Folded Reload
	s_waitcnt vmcnt(0)
	v_cmp_eq_u32_e64 s[72:73], 1, v2
	v_add_co_u32_e64 v2, s[8:9], -1, v2
	buffer_store_dword v2, off, s[96:99], 0 offset:288 ; 4-byte Folded Spill
	buffer_load_dword v2, off, s[96:99], 0 offset:76 ; 4-byte Folded Reload
	;; [unrolled: 5-line block ×12, first 2 shown]
	v_writelane_b32 v127, s0, 30
	v_writelane_b32 v127, s1, 31
	s_waitcnt vmcnt(0)
	v_cmp_eq_u32_e64 s[94:95], 1, v2
	v_add_co_u32_e64 v2, s[0:1], -1, v2
	v_writelane_b32 v127, s0, 32
	v_writelane_b32 v127, s1, 33
	v_cmp_eq_u32_e64 s[0:1], 1, v1
	v_add_co_u32_e64 v1, s[2:3], -1, v1
	v_writelane_b32 v127, s2, 34
	v_writelane_b32 v127, s3, 35
	v_cmp_eq_u32_e64 s[2:3], 1, v0
	v_add_co_u32_e64 v0, s[4:5], -1, v0
	buffer_store_dword v0, off, s[96:99], 0 offset:340 ; 4-byte Folded Spill
	v_add_co_u32_e32 v0, vcc, -1, v20
	buffer_store_dword v0, off, s[96:99], 0 offset:344 ; 4-byte Folded Spill
	v_addc_co_u32_e64 v0, vcc, 0, -1, vcc
	buffer_store_dword v0, off, s[96:99], 0 offset:348 ; 4-byte Folded Spill
	v_addc_co_u32_e64 v0, s[6:7], 0, -1, s[6:7]
	buffer_store_dword v0, off, s[96:99], 0 offset:352 ; 4-byte Folded Spill
	v_addc_co_u32_e64 v0, s[6:7], 0, -1, s[8:9]
	;; [unrolled: 2-line block ×11, first 2 shown]
	buffer_store_dword v2, off, s[96:99], 0 offset:332 ; 4-byte Folded Spill
	buffer_store_dword v1, off, s[96:99], 0 offset:336 ; 4-byte Folded Spill
	;; [unrolled: 1-line block ×3, first 2 shown]
	buffer_store_dword v41, off, s[96:99], 0 ; 4-byte Folded Spill
	buffer_store_dword v41, off, s[96:99], 0 offset:396 ; 4-byte Folded Spill
	buffer_store_dword v3, off, s[96:99], 0 offset:4 ; 4-byte Folded Spill
	;; [unrolled: 1-line block ×140, first 2 shown]
	v_mov_b32_e32 v95, v59
	v_mov_b32_e32 v13, v59
	;; [unrolled: 1-line block ×9, first 2 shown]
	buffer_load_dword v8, off, s[96:99], 0 offset:788 ; 4-byte Folded Reload
	buffer_load_dword v10, off, s[96:99], 0 offset:792 ; 4-byte Folded Reload
	;; [unrolled: 1-line block ×10, first 2 shown]
	v_mov_b32_e32 v40, v58
	v_mov_b32_e32 v0, v58
	;; [unrolled: 1-line block ×6, first 2 shown]
	buffer_load_dword v54, off, s[96:99], 0 offset:784 ; 4-byte Folded Reload
	buffer_load_dword v56, off, s[96:99], 0 offset:772 ; 4-byte Folded Reload
	;; [unrolled: 1-line block ×9, first 2 shown]
	v_writelane_b32 v127, s4, 36
	v_writelane_b32 v127, s5, 37
	v_readlane_b32 s6, v127, 30
	v_readlane_b32 s7, v127, 31
	v_addc_co_u32_e64 v50, s[6:7], 0, -1, s[6:7]
	v_readlane_b32 s6, v127, 32
	v_readlane_b32 s7, v127, 33
	v_addc_co_u32_e64 v3, s[6:7], 0, -1, s[6:7]
	v_readlane_b32 s6, v127, 34
	v_readlane_b32 s7, v127, 35
	v_mov_b32_e32 v80, v19
	v_mov_b32_e32 v2, v19
	v_addc_co_u32_e64 v19, s[6:7], 0, -1, s[6:7]
	v_readlane_b32 s6, v127, 36
	v_cmp_gt_i64_e64 s[4:5], 0, v[17:18]
	v_readlane_b32 s10, v124, 4
	v_readlane_b32 s12, v124, 6
	;; [unrolled: 1-line block ×19, first 2 shown]
	v_mov_b32_e32 v76, v108
	v_mov_b32_e32 v86, v43
	v_mov_b32_e32 v71, v109
	v_mov_b32_e32 v87, v44
	v_mov_b32_e32 v31, v110
	v_mov_b32_e32 v36, v45
	v_mov_b32_e32 v26, v111
	v_mov_b32_e32 v88, v112
	v_mov_b32_e32 v77, v113
	v_mov_b32_e32 v89, v46
	v_mov_b32_e32 v72, v114
	v_mov_b32_e32 v37, v115
	v_mov_b32_e32 v78, v116
	v_mov_b32_e32 v90, v47
	v_mov_b32_e32 v69, v117
	v_mov_b32_e32 v91, v118
	v_mov_b32_e32 v32, v119
	v_mov_b32_e32 v92, v48
	v_mov_b32_e32 v29, v120
	v_mov_b32_e32 v93, v121
	v_mov_b32_e32 v79, v122
	v_mov_b32_e32 v38, v49
	v_mov_b32_e32 v68, v123
	v_mov_b32_e32 v94, v16
	v_mov_b32_e32 v70, v64
	v_mov_b32_e32 v5, v64
	v_mov_b32_e32 v39, v65
	v_mov_b32_e32 v7, v65
	v_mov_b32_e32 v81, v66
	s_waitcnt vmcnt(18)
	v_mov_b32_e32 v98, v8
	s_waitcnt vmcnt(17)
	v_mov_b32_e32 v74, v10
	;; [unrolled: 2-line block ×8, first 2 shown]
	v_mov_b32_e32 v34, v55
	v_mov_b32_e32 v28, v24
	;; [unrolled: 1-line block ×3, first 2 shown]
	s_waitcnt vmcnt(8)
	v_mov_b32_e32 v84, v54
	v_addc_co_u32_e64 v55, s[6:7], 0, -1, s[6:7]
	s_waitcnt vmcnt(7)
	v_mov_b32_e32 v105, v56
	s_waitcnt vmcnt(6)
	v_mov_b32_e32 v75, v57
	;; [unrolled: 2-line block ×8, first 2 shown]
	s_branch .LBB29_2
.LBB29_1:                               ;   in Loop: Header=BB29_2 Depth=1
	s_or_b64 exec, exec, s[6:7]
	s_add_i32 s33, s33, -1
	s_cmp_lg_u32 s33, 0
	s_waitcnt lgkmcnt(0)
	s_barrier
	s_cbranch_scc0 .LBB29_36
.LBB29_2:                               ; =>This Inner Loop Header: Depth=1
	s_and_saveexec_b64 s[6:7], s[66:67]
	s_cbranch_execz .LBB29_4
; %bb.3:                                ;   in Loop: Header=BB29_2 Depth=1
	buffer_load_dword v64, off, s[96:99], 0 offset:676 ; 4-byte Folded Reload
	v_mov_b32_e32 v18, v17
	s_waitcnt vmcnt(0)
	ds_write_b64 v64, v[17:18]
.LBB29_4:                               ;   in Loop: Header=BB29_2 Depth=1
	s_or_b64 exec, exec, s[6:7]
	v_cndmask_b32_e64 v18, 0, 1, s[68:69]
	s_waitcnt lgkmcnt(0)
	s_barrier
	v_cmp_ne_u32_e32 vcc, 0, v18
	buffer_load_dword v18, off, s[96:99], 0 offset:348 ; 4-byte Folded Reload
	buffer_load_dword v64, off, s[96:99], 0 offset:344 ; 4-byte Folded Reload
	buffer_load_dword v66, off, s[96:99], 0 ; 4-byte Folded Reload
	v_cndmask_b32_e64 v65, 0, 1, s[10:11]
	s_waitcnt vmcnt(2)
	v_xor_b32_e32 v18, vcc_hi, v18
	s_waitcnt vmcnt(1)
	v_xor_b32_e32 v64, vcc_lo, v64
	v_cmp_ne_u32_e32 vcc, 0, v65
	buffer_load_dword v65, off, s[96:99], 0 offset:396 ; 4-byte Folded Reload
	v_and_b32_e32 v64, exec_lo, v64
	s_waitcnt vmcnt(1)
	v_xor_b32_e32 v66, vcc_lo, v66
	v_and_b32_e32 v18, exec_hi, v18
	v_and_b32_e32 v64, v64, v66
	buffer_load_dword v66, off, s[96:99], 0 offset:4 ; 4-byte Folded Reload
	s_waitcnt vmcnt(1)
	v_xor_b32_e32 v65, vcc_hi, v65
	v_and_b32_e32 v18, v18, v65
	v_cndmask_b32_e64 v65, 0, 1, s[12:13]
	v_cmp_ne_u32_e32 vcc, 0, v65
	buffer_load_dword v65, off, s[96:99], 0 offset:400 ; 4-byte Folded Reload
	s_waitcnt vmcnt(1)
	v_xor_b32_e32 v66, vcc_lo, v66
	v_and_b32_e32 v64, v64, v66
	buffer_load_dword v66, off, s[96:99], 0 offset:8 ; 4-byte Folded Reload
	s_waitcnt vmcnt(1)
	v_xor_b32_e32 v65, vcc_hi, v65
	v_and_b32_e32 v18, v18, v65
	v_cndmask_b32_e64 v65, 0, 1, s[14:15]
	v_cmp_ne_u32_e32 vcc, 0, v65
	buffer_load_dword v65, off, s[96:99], 0 offset:404 ; 4-byte Folded Reload
	s_waitcnt vmcnt(1)
	v_xor_b32_e32 v66, vcc_lo, v66
	;; [unrolled: 10-line block ×7, first 2 shown]
	v_and_b32_e32 v64, v64, v66
	s_waitcnt vmcnt(0)
	v_xor_b32_e32 v65, vcc_hi, v65
	v_and_b32_e32 v18, v18, v65
	v_mbcnt_lo_u32_b32 v65, v64, 0
	v_mbcnt_hi_u32_b32 v65, v18, v65
	v_cmp_eq_u32_e32 vcc, 0, v65
	s_and_saveexec_b64 s[6:7], vcc
	s_cbranch_execz .LBB29_6
; %bb.5:                                ;   in Loop: Header=BB29_2 Depth=1
	v_bcnt_u32_b32 v64, v64, 0
	v_bcnt_u32_b32 v64, v18, v64
	buffer_load_dword v18, off, s[96:99], 0 offset:680 ; 4-byte Folded Reload
	v_mov_b32_e32 v65, v17
	s_waitcnt vmcnt(0)
	ds_add_u64 v18, v[64:65]
.LBB29_6:                               ;   in Loop: Header=BB29_2 Depth=1
	s_or_b64 exec, exec, s[6:7]
	v_cndmask_b32_e64 v18, 0, 1, s[70:71]
	v_cmp_ne_u32_e32 vcc, 0, v18
	buffer_load_dword v18, off, s[96:99], 0 offset:352 ; 4-byte Folded Reload
	buffer_load_dword v64, off, s[96:99], 0 offset:284 ; 4-byte Folded Reload
	;; [unrolled: 1-line block ×3, first 2 shown]
	v_cndmask_b32_e64 v65, 0, 1, s[26:27]
	v_readlane_b32 s6, v124, 22
	v_readlane_b32 s7, v124, 23
	s_waitcnt vmcnt(2)
	v_xor_b32_e32 v18, vcc_hi, v18
	s_waitcnt vmcnt(1)
	v_xor_b32_e32 v64, vcc_lo, v64
	v_cmp_ne_u32_e32 vcc, 0, v65
	buffer_load_dword v65, off, s[96:99], 0 offset:428 ; 4-byte Folded Reload
	v_and_b32_e32 v64, exec_lo, v64
	s_waitcnt vmcnt(1)
	v_xor_b32_e32 v66, vcc_lo, v66
	v_and_b32_e32 v18, exec_hi, v18
	v_and_b32_e32 v64, v64, v66
	buffer_load_dword v66, off, s[96:99], 0 offset:36 ; 4-byte Folded Reload
	s_waitcnt vmcnt(1)
	v_xor_b32_e32 v65, vcc_hi, v65
	v_and_b32_e32 v18, v18, v65
	v_cndmask_b32_e64 v65, 0, 1, s[6:7]
	v_cmp_ne_u32_e32 vcc, 0, v65
	buffer_load_dword v65, off, s[96:99], 0 offset:432 ; 4-byte Folded Reload
	s_waitcnt vmcnt(1)
	v_xor_b32_e32 v66, vcc_lo, v66
	v_readlane_b32 s6, v124, 24
	v_and_b32_e32 v64, v64, v66
	v_readlane_b32 s7, v124, 25
	buffer_load_dword v66, off, s[96:99], 0 offset:40 ; 4-byte Folded Reload
	s_waitcnt vmcnt(1)
	v_xor_b32_e32 v65, vcc_hi, v65
	v_and_b32_e32 v18, v18, v65
	v_cndmask_b32_e64 v65, 0, 1, s[6:7]
	v_cmp_ne_u32_e32 vcc, 0, v65
	buffer_load_dword v65, off, s[96:99], 0 offset:436 ; 4-byte Folded Reload
	s_waitcnt vmcnt(1)
	v_xor_b32_e32 v66, vcc_lo, v66
	v_readlane_b32 s6, v124, 26
	v_and_b32_e32 v64, v64, v66
	v_readlane_b32 s7, v124, 27
	;; [unrolled: 12-line block ×6, first 2 shown]
	buffer_load_dword v66, off, s[96:99], 0 offset:60 ; 4-byte Folded Reload
	s_waitcnt vmcnt(1)
	v_xor_b32_e32 v65, vcc_hi, v65
	v_and_b32_e32 v18, v18, v65
	v_cndmask_b32_e64 v65, 0, 1, s[6:7]
	v_cmp_ne_u32_e32 vcc, 0, v65
	buffer_load_dword v65, off, s[96:99], 0 offset:456 ; 4-byte Folded Reload
	s_waitcnt vmcnt(1)
	v_xor_b32_e32 v66, vcc_lo, v66
	v_and_b32_e32 v64, v64, v66
	s_waitcnt vmcnt(0)
	v_xor_b32_e32 v65, vcc_hi, v65
	v_and_b32_e32 v18, v18, v65
	v_mbcnt_lo_u32_b32 v65, v64, 0
	v_mbcnt_hi_u32_b32 v65, v18, v65
	v_cmp_eq_u32_e32 vcc, 0, v65
	s_and_saveexec_b64 s[6:7], vcc
	s_cbranch_execz .LBB29_8
; %bb.7:                                ;   in Loop: Header=BB29_2 Depth=1
	v_bcnt_u32_b32 v64, v64, 0
	v_bcnt_u32_b32 v64, v18, v64
	buffer_load_dword v18, off, s[96:99], 0 offset:684 ; 4-byte Folded Reload
	v_mov_b32_e32 v65, v17
	s_waitcnt vmcnt(0)
	ds_add_u64 v18, v[64:65]
.LBB29_8:                               ;   in Loop: Header=BB29_2 Depth=1
	s_or_b64 exec, exec, s[6:7]
	v_cndmask_b32_e64 v18, 0, 1, s[72:73]
	v_cmp_ne_u32_e32 vcc, 0, v18
	buffer_load_dword v18, off, s[96:99], 0 offset:356 ; 4-byte Folded Reload
	buffer_load_dword v64, off, s[96:99], 0 offset:288 ; 4-byte Folded Reload
	;; [unrolled: 1-line block ×3, first 2 shown]
	v_readlane_b32 s6, v124, 36
	v_readlane_b32 s7, v124, 37
	v_cndmask_b32_e64 v65, 0, 1, s[6:7]
	v_readlane_b32 s6, v124, 38
	v_readlane_b32 s7, v124, 39
	s_waitcnt vmcnt(2)
	v_xor_b32_e32 v18, vcc_hi, v18
	s_waitcnt vmcnt(1)
	v_xor_b32_e32 v64, vcc_lo, v64
	v_cmp_ne_u32_e32 vcc, 0, v65
	buffer_load_dword v65, off, s[96:99], 0 offset:460 ; 4-byte Folded Reload
	v_and_b32_e32 v64, exec_lo, v64
	s_waitcnt vmcnt(1)
	v_xor_b32_e32 v66, vcc_lo, v66
	v_and_b32_e32 v18, exec_hi, v18
	v_and_b32_e32 v64, v64, v66
	buffer_load_dword v66, off, s[96:99], 0 offset:68 ; 4-byte Folded Reload
	s_waitcnt vmcnt(1)
	v_xor_b32_e32 v65, vcc_hi, v65
	v_and_b32_e32 v18, v18, v65
	v_cndmask_b32_e64 v65, 0, 1, s[6:7]
	v_cmp_ne_u32_e32 vcc, 0, v65
	buffer_load_dword v65, off, s[96:99], 0 offset:464 ; 4-byte Folded Reload
	s_waitcnt vmcnt(1)
	v_xor_b32_e32 v66, vcc_lo, v66
	v_readlane_b32 s6, v124, 40
	v_and_b32_e32 v64, v64, v66
	v_readlane_b32 s7, v124, 41
	buffer_load_dword v66, off, s[96:99], 0 offset:72 ; 4-byte Folded Reload
	s_waitcnt vmcnt(1)
	v_xor_b32_e32 v65, vcc_hi, v65
	v_and_b32_e32 v18, v18, v65
	v_cndmask_b32_e64 v65, 0, 1, s[6:7]
	v_cmp_ne_u32_e32 vcc, 0, v65
	buffer_load_dword v65, off, s[96:99], 0 offset:468 ; 4-byte Folded Reload
	s_waitcnt vmcnt(1)
	v_xor_b32_e32 v66, vcc_lo, v66
	v_readlane_b32 s6, v124, 42
	v_and_b32_e32 v64, v64, v66
	v_readlane_b32 s7, v124, 43
	;; [unrolled: 12-line block ×6, first 2 shown]
	buffer_load_dword v66, off, s[96:99], 0 offset:92 ; 4-byte Folded Reload
	s_waitcnt vmcnt(1)
	v_xor_b32_e32 v65, vcc_hi, v65
	v_and_b32_e32 v18, v18, v65
	v_cndmask_b32_e64 v65, 0, 1, s[6:7]
	v_cmp_ne_u32_e32 vcc, 0, v65
	buffer_load_dword v65, off, s[96:99], 0 offset:488 ; 4-byte Folded Reload
	s_waitcnt vmcnt(1)
	v_xor_b32_e32 v66, vcc_lo, v66
	v_and_b32_e32 v64, v64, v66
	s_waitcnt vmcnt(0)
	v_xor_b32_e32 v65, vcc_hi, v65
	v_and_b32_e32 v18, v18, v65
	v_mbcnt_lo_u32_b32 v65, v64, 0
	v_mbcnt_hi_u32_b32 v65, v18, v65
	v_cmp_eq_u32_e32 vcc, 0, v65
	s_and_saveexec_b64 s[6:7], vcc
	s_cbranch_execz .LBB29_10
; %bb.9:                                ;   in Loop: Header=BB29_2 Depth=1
	v_bcnt_u32_b32 v64, v64, 0
	v_bcnt_u32_b32 v64, v18, v64
	buffer_load_dword v18, off, s[96:99], 0 offset:688 ; 4-byte Folded Reload
	v_mov_b32_e32 v65, v17
	s_waitcnt vmcnt(0)
	ds_add_u64 v18, v[64:65]
.LBB29_10:                              ;   in Loop: Header=BB29_2 Depth=1
	s_or_b64 exec, exec, s[6:7]
	v_cndmask_b32_e64 v18, 0, 1, s[74:75]
	v_cmp_ne_u32_e32 vcc, 0, v18
	buffer_load_dword v18, off, s[96:99], 0 offset:360 ; 4-byte Folded Reload
	buffer_load_dword v64, off, s[96:99], 0 offset:292 ; 4-byte Folded Reload
	;; [unrolled: 1-line block ×3, first 2 shown]
	v_readlane_b32 s6, v124, 52
	v_readlane_b32 s7, v124, 53
	v_cndmask_b32_e64 v65, 0, 1, s[6:7]
	v_readlane_b32 s6, v124, 54
	v_readlane_b32 s7, v124, 55
	s_waitcnt vmcnt(2)
	v_xor_b32_e32 v18, vcc_hi, v18
	s_waitcnt vmcnt(1)
	v_xor_b32_e32 v64, vcc_lo, v64
	v_cmp_ne_u32_e32 vcc, 0, v65
	buffer_load_dword v65, off, s[96:99], 0 offset:492 ; 4-byte Folded Reload
	v_and_b32_e32 v64, exec_lo, v64
	s_waitcnt vmcnt(1)
	v_xor_b32_e32 v66, vcc_lo, v66
	v_and_b32_e32 v18, exec_hi, v18
	v_and_b32_e32 v64, v64, v66
	buffer_load_dword v66, off, s[96:99], 0 offset:100 ; 4-byte Folded Reload
	s_waitcnt vmcnt(1)
	v_xor_b32_e32 v65, vcc_hi, v65
	v_and_b32_e32 v18, v18, v65
	v_cndmask_b32_e64 v65, 0, 1, s[6:7]
	v_cmp_ne_u32_e32 vcc, 0, v65
	buffer_load_dword v65, off, s[96:99], 0 offset:496 ; 4-byte Folded Reload
	s_waitcnt vmcnt(1)
	v_xor_b32_e32 v66, vcc_lo, v66
	v_readlane_b32 s6, v124, 56
	v_and_b32_e32 v64, v64, v66
	v_readlane_b32 s7, v124, 57
	buffer_load_dword v66, off, s[96:99], 0 offset:104 ; 4-byte Folded Reload
	s_waitcnt vmcnt(1)
	v_xor_b32_e32 v65, vcc_hi, v65
	v_and_b32_e32 v18, v18, v65
	v_cndmask_b32_e64 v65, 0, 1, s[6:7]
	v_cmp_ne_u32_e32 vcc, 0, v65
	buffer_load_dword v65, off, s[96:99], 0 offset:500 ; 4-byte Folded Reload
	s_waitcnt vmcnt(1)
	v_xor_b32_e32 v66, vcc_lo, v66
	v_readlane_b32 s6, v124, 58
	v_and_b32_e32 v64, v64, v66
	v_readlane_b32 s7, v124, 59
	;; [unrolled: 12-line block ×6, first 2 shown]
	buffer_load_dword v66, off, s[96:99], 0 offset:124 ; 4-byte Folded Reload
	s_waitcnt vmcnt(1)
	v_xor_b32_e32 v65, vcc_hi, v65
	v_and_b32_e32 v18, v18, v65
	v_cndmask_b32_e64 v65, 0, 1, s[6:7]
	v_cmp_ne_u32_e32 vcc, 0, v65
	buffer_load_dword v65, off, s[96:99], 0 offset:520 ; 4-byte Folded Reload
	s_waitcnt vmcnt(1)
	v_xor_b32_e32 v66, vcc_lo, v66
	v_and_b32_e32 v64, v64, v66
	s_waitcnt vmcnt(0)
	v_xor_b32_e32 v65, vcc_hi, v65
	v_and_b32_e32 v18, v18, v65
	v_mbcnt_lo_u32_b32 v65, v64, 0
	v_mbcnt_hi_u32_b32 v65, v18, v65
	v_cmp_eq_u32_e32 vcc, 0, v65
	s_and_saveexec_b64 s[6:7], vcc
	s_cbranch_execz .LBB29_12
; %bb.11:                               ;   in Loop: Header=BB29_2 Depth=1
	v_bcnt_u32_b32 v64, v64, 0
	v_bcnt_u32_b32 v64, v18, v64
	buffer_load_dword v18, off, s[96:99], 0 offset:692 ; 4-byte Folded Reload
	v_mov_b32_e32 v65, v17
	s_waitcnt vmcnt(0)
	ds_add_u64 v18, v[64:65]
.LBB29_12:                              ;   in Loop: Header=BB29_2 Depth=1
	s_or_b64 exec, exec, s[6:7]
	v_cndmask_b32_e64 v18, 0, 1, s[76:77]
	v_cmp_ne_u32_e32 vcc, 0, v18
	buffer_load_dword v18, off, s[96:99], 0 offset:364 ; 4-byte Folded Reload
	buffer_load_dword v64, off, s[96:99], 0 offset:296 ; 4-byte Folded Reload
	;; [unrolled: 1-line block ×3, first 2 shown]
	v_readlane_b32 s6, v125, 4
	v_readlane_b32 s7, v125, 5
	v_cndmask_b32_e64 v65, 0, 1, s[6:7]
	v_readlane_b32 s6, v125, 6
	v_readlane_b32 s7, v125, 7
	s_waitcnt vmcnt(2)
	v_xor_b32_e32 v18, vcc_hi, v18
	s_waitcnt vmcnt(1)
	v_xor_b32_e32 v64, vcc_lo, v64
	v_cmp_ne_u32_e32 vcc, 0, v65
	buffer_load_dword v65, off, s[96:99], 0 offset:524 ; 4-byte Folded Reload
	v_and_b32_e32 v64, exec_lo, v64
	s_waitcnt vmcnt(1)
	v_xor_b32_e32 v66, vcc_lo, v66
	v_and_b32_e32 v18, exec_hi, v18
	v_and_b32_e32 v64, v64, v66
	buffer_load_dword v66, off, s[96:99], 0 offset:132 ; 4-byte Folded Reload
	s_waitcnt vmcnt(1)
	v_xor_b32_e32 v65, vcc_hi, v65
	v_and_b32_e32 v18, v18, v65
	v_cndmask_b32_e64 v65, 0, 1, s[6:7]
	v_cmp_ne_u32_e32 vcc, 0, v65
	buffer_load_dword v65, off, s[96:99], 0 offset:528 ; 4-byte Folded Reload
	s_waitcnt vmcnt(1)
	v_xor_b32_e32 v66, vcc_lo, v66
	v_readlane_b32 s6, v125, 8
	v_and_b32_e32 v64, v64, v66
	v_readlane_b32 s7, v125, 9
	buffer_load_dword v66, off, s[96:99], 0 offset:136 ; 4-byte Folded Reload
	s_waitcnt vmcnt(1)
	v_xor_b32_e32 v65, vcc_hi, v65
	v_and_b32_e32 v18, v18, v65
	v_cndmask_b32_e64 v65, 0, 1, s[6:7]
	v_cmp_ne_u32_e32 vcc, 0, v65
	buffer_load_dword v65, off, s[96:99], 0 offset:532 ; 4-byte Folded Reload
	s_waitcnt vmcnt(1)
	v_xor_b32_e32 v66, vcc_lo, v66
	v_readlane_b32 s6, v125, 10
	v_and_b32_e32 v64, v64, v66
	v_readlane_b32 s7, v125, 11
	;; [unrolled: 12-line block ×6, first 2 shown]
	buffer_load_dword v66, off, s[96:99], 0 offset:156 ; 4-byte Folded Reload
	s_waitcnt vmcnt(1)
	v_xor_b32_e32 v65, vcc_hi, v65
	v_and_b32_e32 v18, v18, v65
	v_cndmask_b32_e64 v65, 0, 1, s[6:7]
	v_cmp_ne_u32_e32 vcc, 0, v65
	buffer_load_dword v65, off, s[96:99], 0 offset:552 ; 4-byte Folded Reload
	s_waitcnt vmcnt(1)
	v_xor_b32_e32 v66, vcc_lo, v66
	v_and_b32_e32 v64, v64, v66
	s_waitcnt vmcnt(0)
	v_xor_b32_e32 v65, vcc_hi, v65
	v_and_b32_e32 v18, v18, v65
	v_mbcnt_lo_u32_b32 v65, v64, 0
	v_mbcnt_hi_u32_b32 v65, v18, v65
	v_cmp_eq_u32_e32 vcc, 0, v65
	s_and_saveexec_b64 s[6:7], vcc
	s_cbranch_execz .LBB29_14
; %bb.13:                               ;   in Loop: Header=BB29_2 Depth=1
	v_bcnt_u32_b32 v64, v64, 0
	v_bcnt_u32_b32 v64, v18, v64
	buffer_load_dword v18, off, s[96:99], 0 offset:696 ; 4-byte Folded Reload
	v_mov_b32_e32 v65, v17
	s_waitcnt vmcnt(0)
	ds_add_u64 v18, v[64:65]
.LBB29_14:                              ;   in Loop: Header=BB29_2 Depth=1
	s_or_b64 exec, exec, s[6:7]
	v_cndmask_b32_e64 v18, 0, 1, s[78:79]
	v_cmp_ne_u32_e32 vcc, 0, v18
	buffer_load_dword v18, off, s[96:99], 0 offset:368 ; 4-byte Folded Reload
	buffer_load_dword v64, off, s[96:99], 0 offset:300 ; 4-byte Folded Reload
	buffer_load_dword v66, off, s[96:99], 0 offset:160 ; 4-byte Folded Reload
	v_readlane_b32 s6, v125, 20
	v_readlane_b32 s7, v125, 21
	v_cndmask_b32_e64 v65, 0, 1, s[6:7]
	v_readlane_b32 s6, v125, 22
	v_readlane_b32 s7, v125, 23
	s_waitcnt vmcnt(2)
	v_xor_b32_e32 v18, vcc_hi, v18
	s_waitcnt vmcnt(1)
	v_xor_b32_e32 v64, vcc_lo, v64
	v_cmp_ne_u32_e32 vcc, 0, v65
	buffer_load_dword v65, off, s[96:99], 0 offset:556 ; 4-byte Folded Reload
	v_and_b32_e32 v64, exec_lo, v64
	s_waitcnt vmcnt(1)
	v_xor_b32_e32 v66, vcc_lo, v66
	v_and_b32_e32 v18, exec_hi, v18
	v_and_b32_e32 v64, v64, v66
	buffer_load_dword v66, off, s[96:99], 0 offset:164 ; 4-byte Folded Reload
	s_waitcnt vmcnt(1)
	v_xor_b32_e32 v65, vcc_hi, v65
	v_and_b32_e32 v18, v18, v65
	v_cndmask_b32_e64 v65, 0, 1, s[6:7]
	v_cmp_ne_u32_e32 vcc, 0, v65
	buffer_load_dword v65, off, s[96:99], 0 offset:560 ; 4-byte Folded Reload
	s_waitcnt vmcnt(1)
	v_xor_b32_e32 v66, vcc_lo, v66
	v_readlane_b32 s6, v125, 24
	v_and_b32_e32 v64, v64, v66
	v_readlane_b32 s7, v125, 25
	buffer_load_dword v66, off, s[96:99], 0 offset:168 ; 4-byte Folded Reload
	s_waitcnt vmcnt(1)
	v_xor_b32_e32 v65, vcc_hi, v65
	v_and_b32_e32 v18, v18, v65
	v_cndmask_b32_e64 v65, 0, 1, s[6:7]
	v_cmp_ne_u32_e32 vcc, 0, v65
	buffer_load_dword v65, off, s[96:99], 0 offset:564 ; 4-byte Folded Reload
	s_waitcnt vmcnt(1)
	v_xor_b32_e32 v66, vcc_lo, v66
	v_readlane_b32 s6, v125, 26
	v_and_b32_e32 v64, v64, v66
	v_readlane_b32 s7, v125, 27
	;; [unrolled: 12-line block ×6, first 2 shown]
	buffer_load_dword v66, off, s[96:99], 0 offset:188 ; 4-byte Folded Reload
	s_waitcnt vmcnt(1)
	v_xor_b32_e32 v65, vcc_hi, v65
	v_and_b32_e32 v18, v18, v65
	v_cndmask_b32_e64 v65, 0, 1, s[6:7]
	v_cmp_ne_u32_e32 vcc, 0, v65
	buffer_load_dword v65, off, s[96:99], 0 offset:584 ; 4-byte Folded Reload
	s_waitcnt vmcnt(1)
	v_xor_b32_e32 v66, vcc_lo, v66
	v_and_b32_e32 v64, v64, v66
	s_waitcnt vmcnt(0)
	v_xor_b32_e32 v65, vcc_hi, v65
	v_and_b32_e32 v18, v18, v65
	v_mbcnt_lo_u32_b32 v65, v64, 0
	v_mbcnt_hi_u32_b32 v65, v18, v65
	v_cmp_eq_u32_e32 vcc, 0, v65
	s_and_saveexec_b64 s[6:7], vcc
	s_cbranch_execz .LBB29_16
; %bb.15:                               ;   in Loop: Header=BB29_2 Depth=1
	v_bcnt_u32_b32 v64, v64, 0
	v_bcnt_u32_b32 v64, v18, v64
	buffer_load_dword v18, off, s[96:99], 0 offset:708 ; 4-byte Folded Reload
	v_mov_b32_e32 v65, v17
	s_waitcnt vmcnt(0)
	ds_add_u64 v18, v[64:65]
.LBB29_16:                              ;   in Loop: Header=BB29_2 Depth=1
	s_or_b64 exec, exec, s[6:7]
	v_cndmask_b32_e64 v18, 0, 1, s[80:81]
	v_cmp_ne_u32_e32 vcc, 0, v18
	buffer_load_dword v18, off, s[96:99], 0 offset:372 ; 4-byte Folded Reload
	buffer_load_dword v64, off, s[96:99], 0 offset:304 ; 4-byte Folded Reload
	;; [unrolled: 1-line block ×3, first 2 shown]
	v_readlane_b32 s6, v125, 36
	v_readlane_b32 s7, v125, 37
	v_cndmask_b32_e64 v65, 0, 1, s[6:7]
	v_readlane_b32 s6, v125, 38
	v_readlane_b32 s7, v125, 39
	s_waitcnt vmcnt(2)
	v_xor_b32_e32 v18, vcc_hi, v18
	s_waitcnt vmcnt(1)
	v_xor_b32_e32 v64, vcc_lo, v64
	v_cmp_ne_u32_e32 vcc, 0, v65
	buffer_load_dword v65, off, s[96:99], 0 offset:588 ; 4-byte Folded Reload
	v_and_b32_e32 v64, exec_lo, v64
	s_waitcnt vmcnt(1)
	v_xor_b32_e32 v66, vcc_lo, v66
	v_and_b32_e32 v18, exec_hi, v18
	v_and_b32_e32 v64, v64, v66
	buffer_load_dword v66, off, s[96:99], 0 offset:196 ; 4-byte Folded Reload
	s_waitcnt vmcnt(1)
	v_xor_b32_e32 v65, vcc_hi, v65
	v_and_b32_e32 v18, v18, v65
	v_cndmask_b32_e64 v65, 0, 1, s[6:7]
	v_cmp_ne_u32_e32 vcc, 0, v65
	buffer_load_dword v65, off, s[96:99], 0 offset:592 ; 4-byte Folded Reload
	s_waitcnt vmcnt(1)
	v_xor_b32_e32 v66, vcc_lo, v66
	v_readlane_b32 s6, v125, 40
	v_and_b32_e32 v64, v64, v66
	v_readlane_b32 s7, v125, 41
	buffer_load_dword v66, off, s[96:99], 0 offset:200 ; 4-byte Folded Reload
	s_waitcnt vmcnt(1)
	v_xor_b32_e32 v65, vcc_hi, v65
	v_and_b32_e32 v18, v18, v65
	v_cndmask_b32_e64 v65, 0, 1, s[6:7]
	v_cmp_ne_u32_e32 vcc, 0, v65
	buffer_load_dword v65, off, s[96:99], 0 offset:596 ; 4-byte Folded Reload
	s_waitcnt vmcnt(1)
	v_xor_b32_e32 v66, vcc_lo, v66
	v_readlane_b32 s6, v125, 42
	v_and_b32_e32 v64, v64, v66
	v_readlane_b32 s7, v125, 43
	;; [unrolled: 12-line block ×6, first 2 shown]
	buffer_load_dword v66, off, s[96:99], 0 offset:220 ; 4-byte Folded Reload
	s_waitcnt vmcnt(1)
	v_xor_b32_e32 v65, vcc_hi, v65
	v_and_b32_e32 v18, v18, v65
	v_cndmask_b32_e64 v65, 0, 1, s[6:7]
	v_cmp_ne_u32_e32 vcc, 0, v65
	buffer_load_dword v65, off, s[96:99], 0 offset:616 ; 4-byte Folded Reload
	s_waitcnt vmcnt(1)
	v_xor_b32_e32 v66, vcc_lo, v66
	v_and_b32_e32 v64, v64, v66
	s_waitcnt vmcnt(0)
	v_xor_b32_e32 v65, vcc_hi, v65
	v_and_b32_e32 v18, v18, v65
	v_mbcnt_lo_u32_b32 v65, v64, 0
	v_mbcnt_hi_u32_b32 v65, v18, v65
	v_cmp_eq_u32_e32 vcc, 0, v65
	s_and_saveexec_b64 s[6:7], vcc
	s_cbranch_execz .LBB29_18
; %bb.17:                               ;   in Loop: Header=BB29_2 Depth=1
	v_bcnt_u32_b32 v64, v64, 0
	v_bcnt_u32_b32 v64, v18, v64
	buffer_load_dword v18, off, s[96:99], 0 offset:700 ; 4-byte Folded Reload
	v_mov_b32_e32 v65, v17
	s_waitcnt vmcnt(0)
	ds_add_u64 v18, v[64:65]
.LBB29_18:                              ;   in Loop: Header=BB29_2 Depth=1
	s_or_b64 exec, exec, s[6:7]
	v_cndmask_b32_e64 v18, 0, 1, s[82:83]
	v_cmp_ne_u32_e32 vcc, 0, v18
	buffer_load_dword v18, off, s[96:99], 0 offset:376 ; 4-byte Folded Reload
	buffer_load_dword v64, off, s[96:99], 0 offset:308 ; 4-byte Folded Reload
	;; [unrolled: 1-line block ×3, first 2 shown]
	v_readlane_b32 s6, v125, 52
	v_readlane_b32 s7, v125, 53
	v_cndmask_b32_e64 v65, 0, 1, s[6:7]
	v_readlane_b32 s6, v125, 54
	v_readlane_b32 s7, v125, 55
	s_waitcnt vmcnt(2)
	v_xor_b32_e32 v18, vcc_hi, v18
	s_waitcnt vmcnt(1)
	v_xor_b32_e32 v64, vcc_lo, v64
	v_cmp_ne_u32_e32 vcc, 0, v65
	buffer_load_dword v65, off, s[96:99], 0 offset:620 ; 4-byte Folded Reload
	v_and_b32_e32 v64, exec_lo, v64
	s_waitcnt vmcnt(1)
	v_xor_b32_e32 v66, vcc_lo, v66
	v_and_b32_e32 v18, exec_hi, v18
	v_and_b32_e32 v64, v64, v66
	buffer_load_dword v66, off, s[96:99], 0 offset:228 ; 4-byte Folded Reload
	s_waitcnt vmcnt(1)
	v_xor_b32_e32 v65, vcc_hi, v65
	v_and_b32_e32 v18, v18, v65
	v_cndmask_b32_e64 v65, 0, 1, s[6:7]
	v_cmp_ne_u32_e32 vcc, 0, v65
	buffer_load_dword v65, off, s[96:99], 0 offset:624 ; 4-byte Folded Reload
	s_waitcnt vmcnt(1)
	v_xor_b32_e32 v66, vcc_lo, v66
	v_readlane_b32 s6, v125, 56
	v_and_b32_e32 v64, v64, v66
	v_readlane_b32 s7, v125, 57
	buffer_load_dword v66, off, s[96:99], 0 offset:232 ; 4-byte Folded Reload
	s_waitcnt vmcnt(1)
	v_xor_b32_e32 v65, vcc_hi, v65
	v_and_b32_e32 v18, v18, v65
	v_cndmask_b32_e64 v65, 0, 1, s[6:7]
	v_cmp_ne_u32_e32 vcc, 0, v65
	buffer_load_dword v65, off, s[96:99], 0 offset:628 ; 4-byte Folded Reload
	s_waitcnt vmcnt(1)
	v_xor_b32_e32 v66, vcc_lo, v66
	v_readlane_b32 s6, v125, 58
	v_and_b32_e32 v64, v64, v66
	v_readlane_b32 s7, v125, 59
	buffer_load_dword v66, off, s[96:99], 0 offset:236 ; 4-byte Folded Reload
	s_waitcnt vmcnt(1)
	v_xor_b32_e32 v65, vcc_hi, v65
	v_and_b32_e32 v18, v18, v65
	v_cndmask_b32_e64 v65, 0, 1, s[6:7]
	v_cmp_ne_u32_e32 vcc, 0, v65
	buffer_load_dword v65, off, s[96:99], 0 offset:632 ; 4-byte Folded Reload
	s_waitcnt vmcnt(1)
	v_xor_b32_e32 v66, vcc_lo, v66
	v_readlane_b32 s6, v125, 60
	v_and_b32_e32 v64, v64, v66
	v_readlane_b32 s7, v125, 61
	buffer_load_dword v66, off, s[96:99], 0 offset:240 ; 4-byte Folded Reload
	s_waitcnt vmcnt(1)
	v_xor_b32_e32 v65, vcc_hi, v65
	v_and_b32_e32 v18, v18, v65
	v_cndmask_b32_e64 v65, 0, 1, s[6:7]
	v_cmp_ne_u32_e32 vcc, 0, v65
	buffer_load_dword v65, off, s[96:99], 0 offset:636 ; 4-byte Folded Reload
	s_waitcnt vmcnt(1)
	v_xor_b32_e32 v66, vcc_lo, v66
	v_readlane_b32 s6, v125, 62
	v_and_b32_e32 v64, v64, v66
	v_readlane_b32 s7, v125, 63
	buffer_load_dword v66, off, s[96:99], 0 offset:244 ; 4-byte Folded Reload
	s_waitcnt vmcnt(1)
	v_xor_b32_e32 v65, vcc_hi, v65
	v_and_b32_e32 v18, v18, v65
	v_cndmask_b32_e64 v65, 0, 1, s[6:7]
	v_cmp_ne_u32_e32 vcc, 0, v65
	buffer_load_dword v65, off, s[96:99], 0 offset:640 ; 4-byte Folded Reload
	s_waitcnt vmcnt(1)
	v_xor_b32_e32 v66, vcc_lo, v66
	v_readlane_b32 s6, v126, 0
	v_and_b32_e32 v64, v64, v66
	v_readlane_b32 s7, v126, 1
	buffer_load_dword v66, off, s[96:99], 0 offset:248 ; 4-byte Folded Reload
	s_waitcnt vmcnt(1)
	v_xor_b32_e32 v65, vcc_hi, v65
	v_and_b32_e32 v18, v18, v65
	v_cndmask_b32_e64 v65, 0, 1, s[6:7]
	v_cmp_ne_u32_e32 vcc, 0, v65
	buffer_load_dword v65, off, s[96:99], 0 offset:644 ; 4-byte Folded Reload
	s_waitcnt vmcnt(1)
	v_xor_b32_e32 v66, vcc_lo, v66
	v_readlane_b32 s6, v126, 2
	v_and_b32_e32 v64, v64, v66
	v_readlane_b32 s7, v126, 3
	buffer_load_dword v66, off, s[96:99], 0 offset:252 ; 4-byte Folded Reload
	s_waitcnt vmcnt(1)
	v_xor_b32_e32 v65, vcc_hi, v65
	v_and_b32_e32 v18, v18, v65
	v_cndmask_b32_e64 v65, 0, 1, s[6:7]
	v_cmp_ne_u32_e32 vcc, 0, v65
	buffer_load_dword v65, off, s[96:99], 0 offset:648 ; 4-byte Folded Reload
	s_waitcnt vmcnt(1)
	v_xor_b32_e32 v66, vcc_lo, v66
	v_and_b32_e32 v64, v64, v66
	s_waitcnt vmcnt(0)
	v_xor_b32_e32 v65, vcc_hi, v65
	v_and_b32_e32 v18, v18, v65
	v_mbcnt_lo_u32_b32 v65, v64, 0
	v_mbcnt_hi_u32_b32 v65, v18, v65
	v_cmp_eq_u32_e32 vcc, 0, v65
	s_and_saveexec_b64 s[6:7], vcc
	s_cbranch_execz .LBB29_20
; %bb.19:                               ;   in Loop: Header=BB29_2 Depth=1
	v_bcnt_u32_b32 v64, v64, 0
	v_bcnt_u32_b32 v64, v18, v64
	buffer_load_dword v18, off, s[96:99], 0 offset:712 ; 4-byte Folded Reload
	v_mov_b32_e32 v65, v17
	s_waitcnt vmcnt(0)
	ds_add_u64 v18, v[64:65]
.LBB29_20:                              ;   in Loop: Header=BB29_2 Depth=1
	s_or_b64 exec, exec, s[6:7]
	v_cndmask_b32_e64 v18, 0, 1, s[84:85]
	v_cmp_ne_u32_e32 vcc, 0, v18
	buffer_load_dword v18, off, s[96:99], 0 offset:380 ; 4-byte Folded Reload
	buffer_load_dword v64, off, s[96:99], 0 offset:312 ; 4-byte Folded Reload
	;; [unrolled: 1-line block ×3, first 2 shown]
	v_readlane_b32 s6, v126, 4
	v_readlane_b32 s7, v126, 5
	v_cndmask_b32_e64 v65, 0, 1, s[6:7]
	v_readlane_b32 s6, v126, 6
	v_readlane_b32 s7, v126, 7
	s_waitcnt vmcnt(2)
	v_xor_b32_e32 v18, vcc_hi, v18
	s_waitcnt vmcnt(1)
	v_xor_b32_e32 v64, vcc_lo, v64
	v_cmp_ne_u32_e32 vcc, 0, v65
	buffer_load_dword v65, off, s[96:99], 0 offset:652 ; 4-byte Folded Reload
	v_and_b32_e32 v64, exec_lo, v64
	s_waitcnt vmcnt(1)
	v_xor_b32_e32 v66, vcc_lo, v66
	v_and_b32_e32 v64, v64, v66
	buffer_load_dword v66, off, s[96:99], 0 offset:260 ; 4-byte Folded Reload
	v_and_b32_e32 v18, exec_hi, v18
	s_waitcnt vmcnt(1)
	v_xor_b32_e32 v65, vcc_hi, v65
	v_and_b32_e32 v18, v18, v65
	v_cndmask_b32_e64 v65, 0, 1, s[6:7]
	v_cmp_ne_u32_e32 vcc, 0, v65
	buffer_load_dword v65, off, s[96:99], 0 offset:656 ; 4-byte Folded Reload
	s_waitcnt vmcnt(1)
	v_xor_b32_e32 v66, vcc_lo, v66
	v_and_b32_e32 v64, v64, v66
	buffer_load_dword v66, off, s[96:99], 0 offset:264 ; 4-byte Folded Reload
	v_readlane_b32 s6, v126, 8
	v_readlane_b32 s7, v126, 9
	s_waitcnt vmcnt(1)
	v_xor_b32_e32 v65, vcc_hi, v65
	v_and_b32_e32 v18, v18, v65
	v_cndmask_b32_e64 v65, 0, 1, s[6:7]
	v_cmp_ne_u32_e32 vcc, 0, v65
	buffer_load_dword v65, off, s[96:99], 0 offset:660 ; 4-byte Folded Reload
	s_waitcnt vmcnt(1)
	v_xor_b32_e32 v66, vcc_lo, v66
	v_and_b32_e32 v64, v64, v66
	buffer_load_dword v66, off, s[96:99], 0 offset:268 ; 4-byte Folded Reload
	v_readlane_b32 s6, v126, 10
	v_readlane_b32 s7, v126, 11
	;; [unrolled: 12-line block ×5, first 2 shown]
	s_waitcnt vmcnt(1)
	v_xor_b32_e32 v65, vcc_hi, v65
	v_and_b32_e32 v18, v18, v65
	v_cndmask_b32_e64 v65, 0, 1, s[6:7]
	v_cmp_ne_u32_e32 vcc, 0, v65
	v_readlane_b32 s6, v126, 18
	v_xor_b32_e32 v65, vcc_hi, v107
	v_readlane_b32 s7, v126, 19
	v_and_b32_e32 v18, v18, v65
	v_cndmask_b32_e64 v65, 0, 1, s[6:7]
	s_waitcnt vmcnt(0)
	v_xor_b32_e32 v66, vcc_lo, v66
	v_cmp_ne_u32_e32 vcc, 0, v65
	v_and_b32_e32 v64, v64, v66
	v_xor_b32_e32 v66, vcc_lo, v76
	v_xor_b32_e32 v65, vcc_hi, v108
	v_and_b32_e32 v64, v64, v66
	v_and_b32_e32 v18, v18, v65
	v_mbcnt_lo_u32_b32 v65, v64, 0
	v_mbcnt_hi_u32_b32 v65, v18, v65
	v_cmp_eq_u32_e32 vcc, 0, v65
	s_and_saveexec_b64 s[6:7], vcc
	s_cbranch_execz .LBB29_22
; %bb.21:                               ;   in Loop: Header=BB29_2 Depth=1
	v_bcnt_u32_b32 v64, v64, 0
	v_bcnt_u32_b32 v64, v18, v64
	buffer_load_dword v18, off, s[96:99], 0 offset:704 ; 4-byte Folded Reload
	v_mov_b32_e32 v65, v17
	s_waitcnt vmcnt(0)
	ds_add_u64 v18, v[64:65]
.LBB29_22:                              ;   in Loop: Header=BB29_2 Depth=1
	s_or_b64 exec, exec, s[6:7]
	v_cndmask_b32_e64 v18, 0, 1, s[86:87]
	v_cmp_ne_u32_e32 vcc, 0, v18
	buffer_load_dword v18, off, s[96:99], 0 offset:384 ; 4-byte Folded Reload
	buffer_load_dword v64, off, s[96:99], 0 offset:316 ; 4-byte Folded Reload
	v_readlane_b32 s6, v126, 20
	v_readlane_b32 s7, v126, 21
	v_cndmask_b32_e64 v65, 0, 1, s[6:7]
	v_readlane_b32 s6, v126, 22
	v_readlane_b32 s7, v126, 23
	s_waitcnt vmcnt(1)
	v_xor_b32_e32 v18, vcc_hi, v18
	s_waitcnt vmcnt(0)
	v_xor_b32_e32 v64, vcc_lo, v64
	v_cmp_ne_u32_e32 vcc, 0, v65
	v_and_b32_e32 v18, exec_hi, v18
	v_xor_b32_e32 v65, vcc_hi, v43
	v_and_b32_e32 v18, v18, v65
	v_cndmask_b32_e64 v65, 0, 1, s[6:7]
	v_xor_b32_e32 v66, vcc_lo, v86
	v_cmp_ne_u32_e32 vcc, 0, v65
	v_readlane_b32 s6, v126, 24
	v_xor_b32_e32 v65, vcc_hi, v109
	v_readlane_b32 s7, v126, 25
	v_and_b32_e32 v64, exec_lo, v64
	v_and_b32_e32 v18, v18, v65
	v_cndmask_b32_e64 v65, 0, 1, s[6:7]
	v_and_b32_e32 v64, v64, v66
	v_xor_b32_e32 v66, vcc_lo, v71
	v_cmp_ne_u32_e32 vcc, 0, v65
	v_readlane_b32 s6, v126, 26
	v_xor_b32_e32 v65, vcc_hi, v44
	v_readlane_b32 s7, v126, 27
	v_and_b32_e32 v18, v18, v65
	v_cndmask_b32_e64 v65, 0, 1, s[6:7]
	v_and_b32_e32 v64, v64, v66
	v_xor_b32_e32 v66, vcc_lo, v87
	v_cmp_ne_u32_e32 vcc, 0, v65
	v_readlane_b32 s6, v126, 28
	v_xor_b32_e32 v65, vcc_hi, v110
	v_readlane_b32 s7, v126, 29
	;; [unrolled: 8-line block ×5, first 2 shown]
	v_and_b32_e32 v18, v18, v65
	v_cndmask_b32_e64 v65, 0, 1, s[6:7]
	v_and_b32_e32 v64, v64, v66
	v_xor_b32_e32 v66, vcc_lo, v88
	v_cmp_ne_u32_e32 vcc, 0, v65
	v_and_b32_e32 v64, v64, v66
	v_xor_b32_e32 v66, vcc_lo, v77
	v_xor_b32_e32 v65, vcc_hi, v113
	v_and_b32_e32 v64, v64, v66
	v_and_b32_e32 v18, v18, v65
	v_mbcnt_lo_u32_b32 v65, v64, 0
	v_mbcnt_hi_u32_b32 v65, v18, v65
	v_cmp_eq_u32_e32 vcc, 0, v65
	s_and_saveexec_b64 s[6:7], vcc
	s_cbranch_execz .LBB29_24
; %bb.23:                               ;   in Loop: Header=BB29_2 Depth=1
	v_bcnt_u32_b32 v64, v64, 0
	v_bcnt_u32_b32 v64, v18, v64
	buffer_load_dword v18, off, s[96:99], 0 offset:716 ; 4-byte Folded Reload
	v_mov_b32_e32 v65, v17
	s_waitcnt vmcnt(0)
	ds_add_u64 v18, v[64:65]
.LBB29_24:                              ;   in Loop: Header=BB29_2 Depth=1
	s_or_b64 exec, exec, s[6:7]
	v_cndmask_b32_e64 v18, 0, 1, s[88:89]
	v_cmp_ne_u32_e32 vcc, 0, v18
	buffer_load_dword v18, off, s[96:99], 0 offset:388 ; 4-byte Folded Reload
	buffer_load_dword v64, off, s[96:99], 0 offset:320 ; 4-byte Folded Reload
	v_readlane_b32 s6, v126, 36
	v_readlane_b32 s7, v126, 37
	v_cndmask_b32_e64 v65, 0, 1, s[6:7]
	v_readlane_b32 s6, v126, 38
	v_readlane_b32 s7, v126, 39
	s_waitcnt vmcnt(1)
	v_xor_b32_e32 v18, vcc_hi, v18
	s_waitcnt vmcnt(0)
	v_xor_b32_e32 v64, vcc_lo, v64
	v_cmp_ne_u32_e32 vcc, 0, v65
	v_and_b32_e32 v18, exec_hi, v18
	v_xor_b32_e32 v65, vcc_hi, v46
	v_and_b32_e32 v18, v18, v65
	v_cndmask_b32_e64 v65, 0, 1, s[6:7]
	v_xor_b32_e32 v66, vcc_lo, v89
	v_cmp_ne_u32_e32 vcc, 0, v65
	v_readlane_b32 s6, v126, 40
	v_xor_b32_e32 v65, vcc_hi, v114
	v_readlane_b32 s7, v126, 41
	v_and_b32_e32 v64, exec_lo, v64
	v_and_b32_e32 v18, v18, v65
	v_cndmask_b32_e64 v65, 0, 1, s[6:7]
	v_and_b32_e32 v64, v64, v66
	v_xor_b32_e32 v66, vcc_lo, v72
	v_cmp_ne_u32_e32 vcc, 0, v65
	v_readlane_b32 s6, v126, 42
	v_xor_b32_e32 v65, vcc_hi, v115
	v_readlane_b32 s7, v126, 43
	v_and_b32_e32 v18, v18, v65
	v_cndmask_b32_e64 v65, 0, 1, s[6:7]
	v_and_b32_e32 v64, v64, v66
	v_xor_b32_e32 v66, vcc_lo, v37
	v_cmp_ne_u32_e32 vcc, 0, v65
	v_readlane_b32 s6, v126, 44
	v_xor_b32_e32 v65, vcc_hi, v116
	v_readlane_b32 s7, v126, 45
	;; [unrolled: 8-line block ×5, first 2 shown]
	v_and_b32_e32 v18, v18, v65
	v_cndmask_b32_e64 v65, 0, 1, s[6:7]
	v_and_b32_e32 v64, v64, v66
	v_xor_b32_e32 v66, vcc_lo, v91
	v_cmp_ne_u32_e32 vcc, 0, v65
	v_and_b32_e32 v64, v64, v66
	v_xor_b32_e32 v66, vcc_lo, v32
	v_xor_b32_e32 v65, vcc_hi, v119
	v_and_b32_e32 v64, v64, v66
	v_and_b32_e32 v18, v18, v65
	v_mbcnt_lo_u32_b32 v65, v64, 0
	v_mbcnt_hi_u32_b32 v65, v18, v65
	v_cmp_eq_u32_e32 vcc, 0, v65
	s_and_saveexec_b64 s[6:7], vcc
	s_cbranch_execz .LBB29_26
; %bb.25:                               ;   in Loop: Header=BB29_2 Depth=1
	v_bcnt_u32_b32 v64, v64, 0
	v_bcnt_u32_b32 v64, v18, v64
	buffer_load_dword v18, off, s[96:99], 0 offset:720 ; 4-byte Folded Reload
	v_mov_b32_e32 v65, v17
	s_waitcnt vmcnt(0)
	ds_add_u64 v18, v[64:65]
.LBB29_26:                              ;   in Loop: Header=BB29_2 Depth=1
	s_or_b64 exec, exec, s[6:7]
	v_cndmask_b32_e64 v18, 0, 1, s[90:91]
	v_cmp_ne_u32_e32 vcc, 0, v18
	buffer_load_dword v18, off, s[96:99], 0 offset:392 ; 4-byte Folded Reload
	buffer_load_dword v64, off, s[96:99], 0 offset:324 ; 4-byte Folded Reload
	v_readlane_b32 s6, v126, 52
	v_readlane_b32 s7, v126, 53
	v_cndmask_b32_e64 v65, 0, 1, s[6:7]
	v_readlane_b32 s6, v126, 54
	v_readlane_b32 s7, v126, 55
	s_waitcnt vmcnt(1)
	v_xor_b32_e32 v18, vcc_hi, v18
	s_waitcnt vmcnt(0)
	v_xor_b32_e32 v64, vcc_lo, v64
	v_cmp_ne_u32_e32 vcc, 0, v65
	v_and_b32_e32 v18, exec_hi, v18
	v_xor_b32_e32 v65, vcc_hi, v48
	v_and_b32_e32 v18, v18, v65
	v_cndmask_b32_e64 v65, 0, 1, s[6:7]
	v_xor_b32_e32 v66, vcc_lo, v92
	v_cmp_ne_u32_e32 vcc, 0, v65
	v_readlane_b32 s6, v126, 56
	v_xor_b32_e32 v65, vcc_hi, v120
	v_readlane_b32 s7, v126, 57
	v_and_b32_e32 v64, exec_lo, v64
	v_and_b32_e32 v18, v18, v65
	v_cndmask_b32_e64 v65, 0, 1, s[6:7]
	v_and_b32_e32 v64, v64, v66
	v_xor_b32_e32 v66, vcc_lo, v29
	v_cmp_ne_u32_e32 vcc, 0, v65
	v_readlane_b32 s6, v126, 58
	v_xor_b32_e32 v65, vcc_hi, v121
	v_readlane_b32 s7, v126, 59
	v_and_b32_e32 v18, v18, v65
	v_cndmask_b32_e64 v65, 0, 1, s[6:7]
	v_and_b32_e32 v64, v64, v66
	v_xor_b32_e32 v66, vcc_lo, v93
	v_cmp_ne_u32_e32 vcc, 0, v65
	v_readlane_b32 s6, v126, 60
	v_xor_b32_e32 v65, vcc_hi, v122
	v_readlane_b32 s7, v126, 61
	;; [unrolled: 8-line block ×5, first 2 shown]
	v_and_b32_e32 v18, v18, v65
	v_cndmask_b32_e64 v65, 0, 1, s[6:7]
	v_and_b32_e32 v64, v64, v66
	v_xor_b32_e32 v66, vcc_lo, v94
	v_cmp_ne_u32_e32 vcc, 0, v65
	v_and_b32_e32 v64, v64, v66
	v_xor_b32_e32 v66, vcc_lo, v80
	v_xor_b32_e32 v65, vcc_hi, v2
	v_and_b32_e32 v64, v64, v66
	v_and_b32_e32 v18, v18, v65
	v_mbcnt_lo_u32_b32 v65, v64, 0
	v_mbcnt_hi_u32_b32 v65, v18, v65
	v_cmp_eq_u32_e32 vcc, 0, v65
	s_and_saveexec_b64 s[6:7], vcc
	s_cbranch_execz .LBB29_28
; %bb.27:                               ;   in Loop: Header=BB29_2 Depth=1
	v_bcnt_u32_b32 v64, v64, 0
	v_bcnt_u32_b32 v64, v18, v64
	buffer_load_dword v18, off, s[96:99], 0 offset:724 ; 4-byte Folded Reload
	v_mov_b32_e32 v65, v17
	s_waitcnt vmcnt(0)
	ds_add_u64 v18, v[64:65]
.LBB29_28:                              ;   in Loop: Header=BB29_2 Depth=1
	s_or_b64 exec, exec, s[6:7]
	buffer_load_dword v64, off, s[96:99], 0 offset:328 ; 4-byte Folded Reload
	v_readlane_b32 s6, v127, 4
	v_cndmask_b32_e64 v18, 0, 1, s[92:93]
	v_readlane_b32 s7, v127, 5
	v_cmp_ne_u32_e32 vcc, 0, v18
	v_cndmask_b32_e64 v65, 0, 1, s[6:7]
	v_xor_b32_e32 v18, vcc_hi, v50
	v_readlane_b32 s6, v127, 6
	v_and_b32_e32 v18, exec_hi, v18
	v_readlane_b32 s7, v127, 7
	s_waitcnt vmcnt(0)
	v_xor_b32_e32 v64, vcc_lo, v64
	v_cmp_ne_u32_e32 vcc, 0, v65
	v_xor_b32_e32 v65, vcc_hi, v13
	v_and_b32_e32 v18, v18, v65
	v_cndmask_b32_e64 v65, 0, 1, s[6:7]
	v_xor_b32_e32 v66, vcc_lo, v95
	v_cmp_ne_u32_e32 vcc, 0, v65
	v_readlane_b32 s6, v127, 8
	v_xor_b32_e32 v65, vcc_hi, v9
	v_readlane_b32 s7, v127, 9
	v_and_b32_e32 v64, exec_lo, v64
	v_and_b32_e32 v18, v18, v65
	v_cndmask_b32_e64 v65, 0, 1, s[6:7]
	v_and_b32_e32 v64, v64, v66
	v_xor_b32_e32 v66, vcc_lo, v73
	v_cmp_ne_u32_e32 vcc, 0, v65
	v_readlane_b32 s6, v127, 10
	v_xor_b32_e32 v65, vcc_hi, v11
	v_readlane_b32 s7, v127, 11
	v_and_b32_e32 v18, v18, v65
	v_cndmask_b32_e64 v65, 0, 1, s[6:7]
	v_and_b32_e32 v64, v64, v66
	v_xor_b32_e32 v66, vcc_lo, v96
	v_cmp_ne_u32_e32 vcc, 0, v65
	v_readlane_b32 s6, v127, 12
	v_xor_b32_e32 v65, vcc_hi, v51
	v_readlane_b32 s7, v127, 13
	;; [unrolled: 8-line block ×5, first 2 shown]
	v_and_b32_e32 v18, v18, v65
	v_cndmask_b32_e64 v65, 0, 1, s[6:7]
	v_and_b32_e32 v64, v64, v66
	v_xor_b32_e32 v66, vcc_lo, v39
	v_cmp_ne_u32_e32 vcc, 0, v65
	v_and_b32_e32 v64, v64, v66
	v_xor_b32_e32 v66, vcc_lo, v81
	v_xor_b32_e32 v65, vcc_hi, v52
	v_and_b32_e32 v64, v64, v66
	v_and_b32_e32 v18, v18, v65
	v_mbcnt_lo_u32_b32 v65, v64, 0
	v_mbcnt_hi_u32_b32 v65, v18, v65
	v_cmp_eq_u32_e32 vcc, 0, v65
	s_and_saveexec_b64 s[6:7], vcc
	s_cbranch_execz .LBB29_30
; %bb.29:                               ;   in Loop: Header=BB29_2 Depth=1
	v_bcnt_u32_b32 v64, v64, 0
	v_bcnt_u32_b32 v64, v18, v64
	buffer_load_dword v18, off, s[96:99], 0 offset:728 ; 4-byte Folded Reload
	v_mov_b32_e32 v65, v17
	s_waitcnt vmcnt(0)
	ds_add_u64 v18, v[64:65]
.LBB29_30:                              ;   in Loop: Header=BB29_2 Depth=1
	s_or_b64 exec, exec, s[6:7]
	buffer_load_dword v64, off, s[96:99], 0 offset:332 ; 4-byte Folded Reload
	v_readlane_b32 s6, v127, 20
	v_cndmask_b32_e64 v18, 0, 1, s[94:95]
	v_readlane_b32 s7, v127, 21
	v_cmp_ne_u32_e32 vcc, 0, v18
	v_cndmask_b32_e64 v65, 0, 1, s[6:7]
	v_xor_b32_e32 v18, vcc_hi, v3
	v_readlane_b32 s6, v127, 22
	v_and_b32_e32 v18, exec_hi, v18
	v_readlane_b32 s7, v127, 23
	s_waitcnt vmcnt(0)
	v_xor_b32_e32 v64, vcc_lo, v64
	v_cmp_ne_u32_e32 vcc, 0, v65
	v_xor_b32_e32 v65, vcc_hi, v8
	v_and_b32_e32 v18, v18, v65
	v_cndmask_b32_e64 v65, 0, 1, s[6:7]
	v_xor_b32_e32 v66, vcc_lo, v98
	v_cmp_ne_u32_e32 vcc, 0, v65
	v_readlane_b32 s6, v127, 24
	v_xor_b32_e32 v65, vcc_hi, v10
	v_readlane_b32 s7, v127, 25
	v_and_b32_e32 v64, exec_lo, v64
	v_and_b32_e32 v18, v18, v65
	v_cndmask_b32_e64 v65, 0, 1, s[6:7]
	v_and_b32_e32 v64, v64, v66
	v_xor_b32_e32 v66, vcc_lo, v74
	v_cmp_ne_u32_e32 vcc, 0, v65
	v_readlane_b32 s6, v127, 26
	v_xor_b32_e32 v65, vcc_hi, v4
	v_readlane_b32 s7, v127, 27
	v_and_b32_e32 v18, v18, v65
	v_cndmask_b32_e64 v65, 0, 1, s[6:7]
	v_and_b32_e32 v64, v64, v66
	v_xor_b32_e32 v66, vcc_lo, v99
	v_cmp_ne_u32_e32 vcc, 0, v65
	v_readlane_b32 s6, v127, 28
	v_xor_b32_e32 v65, vcc_hi, v53
	v_readlane_b32 s7, v127, 29
	v_and_b32_e32 v18, v18, v65
	v_cndmask_b32_e64 v65, 0, 1, s[6:7]
	v_and_b32_e32 v64, v64, v66
	v_xor_b32_e32 v66, vcc_lo, v82
	v_cmp_ne_u32_e32 vcc, 0, v65
	v_xor_b32_e32 v65, vcc_hi, v6
	v_and_b32_e32 v18, v18, v65
	v_cndmask_b32_e64 v65, 0, 1, s[28:29]
	v_and_b32_e32 v64, v64, v66
	v_xor_b32_e32 v66, vcc_lo, v100
	v_cmp_ne_u32_e32 vcc, 0, v65
	v_xor_b32_e32 v65, vcc_hi, v12
	;; [unrolled: 6-line block ×3, first 2 shown]
	v_and_b32_e32 v18, v18, v65
	v_cndmask_b32_e64 v65, 0, 1, s[34:35]
	v_and_b32_e32 v64, v64, v66
	v_xor_b32_e32 v66, vcc_lo, v101
	v_cmp_ne_u32_e32 vcc, 0, v65
	v_and_b32_e32 v64, v64, v66
	v_xor_b32_e32 v66, vcc_lo, v83
	v_xor_b32_e32 v65, vcc_hi, v15
	v_and_b32_e32 v64, v64, v66
	v_and_b32_e32 v18, v18, v65
	v_mbcnt_lo_u32_b32 v65, v64, 0
	v_mbcnt_hi_u32_b32 v65, v18, v65
	v_cmp_eq_u32_e32 vcc, 0, v65
	s_and_saveexec_b64 s[6:7], vcc
	s_cbranch_execz .LBB29_32
; %bb.31:                               ;   in Loop: Header=BB29_2 Depth=1
	v_bcnt_u32_b32 v64, v64, 0
	v_bcnt_u32_b32 v64, v18, v64
	buffer_load_dword v18, off, s[96:99], 0 offset:732 ; 4-byte Folded Reload
	v_mov_b32_e32 v65, v17
	s_waitcnt vmcnt(0)
	ds_add_u64 v18, v[64:65]
.LBB29_32:                              ;   in Loop: Header=BB29_2 Depth=1
	s_or_b64 exec, exec, s[6:7]
	buffer_load_dword v64, off, s[96:99], 0 offset:336 ; 4-byte Folded Reload
	v_cndmask_b32_e64 v18, 0, 1, s[0:1]
	v_cmp_ne_u32_e32 vcc, 0, v18
	v_cndmask_b32_e64 v65, 0, 1, s[36:37]
	v_xor_b32_e32 v18, vcc_hi, v19
	v_and_b32_e32 v18, exec_hi, v18
	s_waitcnt vmcnt(0)
	v_xor_b32_e32 v64, vcc_lo, v64
	v_cmp_ne_u32_e32 vcc, 0, v65
	v_xor_b32_e32 v65, vcc_hi, v0
	v_and_b32_e32 v18, v18, v65
	v_cndmask_b32_e64 v65, 0, 1, s[38:39]
	v_xor_b32_e32 v66, vcc_lo, v40
	v_cmp_ne_u32_e32 vcc, 0, v65
	v_xor_b32_e32 v65, vcc_hi, v20
	v_and_b32_e32 v64, exec_lo, v64
	v_and_b32_e32 v18, v18, v65
	v_cndmask_b32_e64 v65, 0, 1, s[40:41]
	v_and_b32_e32 v64, v64, v66
	v_xor_b32_e32 v66, vcc_lo, v30
	v_cmp_ne_u32_e32 vcc, 0, v65
	v_xor_b32_e32 v65, vcc_hi, v21
	v_and_b32_e32 v18, v18, v65
	v_cndmask_b32_e64 v65, 0, 1, s[42:43]
	v_and_b32_e32 v64, v64, v66
	v_xor_b32_e32 v66, vcc_lo, v102
	v_cmp_ne_u32_e32 vcc, 0, v65
	v_xor_b32_e32 v65, vcc_hi, v22
	;; [unrolled: 6-line block ×5, first 2 shown]
	v_and_b32_e32 v18, v18, v65
	v_cndmask_b32_e64 v65, 0, 1, s[50:51]
	v_and_b32_e32 v64, v64, v66
	v_xor_b32_e32 v66, vcc_lo, v104
	v_cmp_ne_u32_e32 vcc, 0, v65
	v_and_b32_e32 v64, v64, v66
	v_xor_b32_e32 v66, vcc_lo, v84
	v_xor_b32_e32 v65, vcc_hi, v54
	v_and_b32_e32 v64, v64, v66
	v_and_b32_e32 v18, v18, v65
	v_mbcnt_lo_u32_b32 v65, v64, 0
	v_mbcnt_hi_u32_b32 v65, v18, v65
	v_cmp_eq_u32_e32 vcc, 0, v65
	s_and_saveexec_b64 s[6:7], vcc
	s_cbranch_execz .LBB29_34
; %bb.33:                               ;   in Loop: Header=BB29_2 Depth=1
	v_bcnt_u32_b32 v64, v64, 0
	v_bcnt_u32_b32 v64, v18, v64
	buffer_load_dword v18, off, s[96:99], 0 offset:736 ; 4-byte Folded Reload
	v_mov_b32_e32 v65, v17
	s_waitcnt vmcnt(0)
	ds_add_u64 v18, v[64:65]
.LBB29_34:                              ;   in Loop: Header=BB29_2 Depth=1
	s_or_b64 exec, exec, s[6:7]
	buffer_load_dword v64, off, s[96:99], 0 offset:340 ; 4-byte Folded Reload
	v_cndmask_b32_e64 v18, 0, 1, s[2:3]
	v_cmp_ne_u32_e32 vcc, 0, v18
	v_cndmask_b32_e64 v65, 0, 1, s[52:53]
	v_xor_b32_e32 v18, vcc_hi, v55
	v_and_b32_e32 v18, exec_hi, v18
	s_waitcnt vmcnt(0)
	v_xor_b32_e32 v64, vcc_lo, v64
	v_cmp_ne_u32_e32 vcc, 0, v65
	v_xor_b32_e32 v65, vcc_hi, v56
	v_and_b32_e32 v18, v18, v65
	v_cndmask_b32_e64 v65, 0, 1, s[54:55]
	v_xor_b32_e32 v66, vcc_lo, v105
	v_cmp_ne_u32_e32 vcc, 0, v65
	v_xor_b32_e32 v65, vcc_hi, v57
	v_and_b32_e32 v64, exec_lo, v64
	v_and_b32_e32 v18, v18, v65
	v_cndmask_b32_e64 v65, 0, 1, s[56:57]
	v_and_b32_e32 v64, v64, v66
	v_xor_b32_e32 v66, vcc_lo, v75
	v_cmp_ne_u32_e32 vcc, 0, v65
	v_xor_b32_e32 v65, vcc_hi, v58
	v_and_b32_e32 v18, v18, v65
	v_cndmask_b32_e64 v65, 0, 1, s[58:59]
	v_and_b32_e32 v64, v64, v66
	v_xor_b32_e32 v66, vcc_lo, v41
	v_cmp_ne_u32_e32 vcc, 0, v65
	v_xor_b32_e32 v65, vcc_hi, v59
	;; [unrolled: 6-line block ×5, first 2 shown]
	v_and_b32_e32 v18, v18, v65
	v_cndmask_b32_e64 v65, 0, 1, s[4:5]
	v_and_b32_e32 v64, v64, v66
	v_xor_b32_e32 v66, vcc_lo, v42
	v_cmp_ne_u32_e32 vcc, 0, v65
	v_and_b32_e32 v64, v64, v66
	v_xor_b32_e32 v66, vcc_lo, v35
	v_xor_b32_e32 v65, vcc_hi, v63
	v_and_b32_e32 v64, v64, v66
	v_and_b32_e32 v18, v18, v65
	v_mbcnt_lo_u32_b32 v65, v64, 0
	v_mbcnt_hi_u32_b32 v65, v18, v65
	v_cmp_eq_u32_e32 vcc, 0, v65
	s_and_saveexec_b64 s[6:7], vcc
	s_cbranch_execz .LBB29_1
; %bb.35:                               ;   in Loop: Header=BB29_2 Depth=1
	v_bcnt_u32_b32 v64, v64, 0
	v_bcnt_u32_b32 v64, v18, v64
	buffer_load_dword v18, off, s[96:99], 0 offset:740 ; 4-byte Folded Reload
	v_mov_b32_e32 v65, v17
	s_waitcnt vmcnt(0)
	ds_add_u64 v18, v[64:65]
	s_branch .LBB29_1
.LBB29_36:
	s_and_saveexec_b64 s[0:1], s[66:67]
	s_cbranch_execz .LBB29_38
; %bb.37:
	buffer_load_dword v0, off, s[96:99], 0 offset:820 ; 4-byte Folded Reload
	buffer_load_dword v1, off, s[96:99], 0 offset:824 ; 4-byte Folded Reload
	buffer_load_dword v2, off, s[96:99], 0 offset:676 ; 4-byte Folded Reload
	s_waitcnt vmcnt(1)
	v_mov_b32_e32 v1, 0
	v_readlane_b32 s0, v124, 0
	v_readlane_b32 s2, v124, 2
	;; [unrolled: 1-line block ×3, first 2 shown]
	v_mov_b32_e32 v4, s3
	v_readlane_b32 s1, v124, 1
	v_lshlrev_b64 v[0:1], 3, v[0:1]
	s_waitcnt vmcnt(0)
	ds_read_b64 v[2:3], v2
	v_add_co_u32_e32 v0, vcc, s2, v0
	v_addc_co_u32_e32 v1, vcc, v4, v1, vcc
	s_waitcnt lgkmcnt(0)
	global_store_dwordx2 v[0:1], v[2:3], off
.LBB29_38:
	s_endpgm
	.section	.rodata,"a",@progbits
	.p2align	6, 0x0
	.amdhsa_kernel _Z6kernelI9histogramILN6hipcub23BlockHistogramAlgorithmE0EEyLj320ELj16ELj320ELj100EEvPKT0_PS4_
		.amdhsa_group_segment_fixed_size 2560
		.amdhsa_private_segment_fixed_size 832
		.amdhsa_kernarg_size 16
		.amdhsa_user_sgpr_count 6
		.amdhsa_user_sgpr_private_segment_buffer 1
		.amdhsa_user_sgpr_dispatch_ptr 0
		.amdhsa_user_sgpr_queue_ptr 0
		.amdhsa_user_sgpr_kernarg_segment_ptr 1
		.amdhsa_user_sgpr_dispatch_id 0
		.amdhsa_user_sgpr_flat_scratch_init 0
		.amdhsa_user_sgpr_private_segment_size 0
		.amdhsa_uses_dynamic_stack 0
		.amdhsa_system_sgpr_private_segment_wavefront_offset 1
		.amdhsa_system_sgpr_workgroup_id_x 1
		.amdhsa_system_sgpr_workgroup_id_y 0
		.amdhsa_system_sgpr_workgroup_id_z 0
		.amdhsa_system_sgpr_workgroup_info 0
		.amdhsa_system_vgpr_workitem_id 0
		.amdhsa_next_free_vgpr 128
		.amdhsa_next_free_sgpr 100
		.amdhsa_reserve_vcc 1
		.amdhsa_reserve_flat_scratch 0
		.amdhsa_float_round_mode_32 0
		.amdhsa_float_round_mode_16_64 0
		.amdhsa_float_denorm_mode_32 3
		.amdhsa_float_denorm_mode_16_64 3
		.amdhsa_dx10_clamp 1
		.amdhsa_ieee_mode 1
		.amdhsa_fp16_overflow 0
		.amdhsa_exception_fp_ieee_invalid_op 0
		.amdhsa_exception_fp_denorm_src 0
		.amdhsa_exception_fp_ieee_div_zero 0
		.amdhsa_exception_fp_ieee_overflow 0
		.amdhsa_exception_fp_ieee_underflow 0
		.amdhsa_exception_fp_ieee_inexact 0
		.amdhsa_exception_int_div_zero 0
	.end_amdhsa_kernel
	.section	.text._Z6kernelI9histogramILN6hipcub23BlockHistogramAlgorithmE0EEyLj320ELj16ELj320ELj100EEvPKT0_PS4_,"axG",@progbits,_Z6kernelI9histogramILN6hipcub23BlockHistogramAlgorithmE0EEyLj320ELj16ELj320ELj100EEvPKT0_PS4_,comdat
.Lfunc_end29:
	.size	_Z6kernelI9histogramILN6hipcub23BlockHistogramAlgorithmE0EEyLj320ELj16ELj320ELj100EEvPKT0_PS4_, .Lfunc_end29-_Z6kernelI9histogramILN6hipcub23BlockHistogramAlgorithmE0EEyLj320ELj16ELj320ELj100EEvPKT0_PS4_
                                        ; -- End function
	.set _Z6kernelI9histogramILN6hipcub23BlockHistogramAlgorithmE0EEyLj320ELj16ELj320ELj100EEvPKT0_PS4_.num_vgpr, 128
	.set _Z6kernelI9histogramILN6hipcub23BlockHistogramAlgorithmE0EEyLj320ELj16ELj320ELj100EEvPKT0_PS4_.num_agpr, 0
	.set _Z6kernelI9histogramILN6hipcub23BlockHistogramAlgorithmE0EEyLj320ELj16ELj320ELj100EEvPKT0_PS4_.numbered_sgpr, 100
	.set _Z6kernelI9histogramILN6hipcub23BlockHistogramAlgorithmE0EEyLj320ELj16ELj320ELj100EEvPKT0_PS4_.num_named_barrier, 0
	.set _Z6kernelI9histogramILN6hipcub23BlockHistogramAlgorithmE0EEyLj320ELj16ELj320ELj100EEvPKT0_PS4_.private_seg_size, 832
	.set _Z6kernelI9histogramILN6hipcub23BlockHistogramAlgorithmE0EEyLj320ELj16ELj320ELj100EEvPKT0_PS4_.uses_vcc, 1
	.set _Z6kernelI9histogramILN6hipcub23BlockHistogramAlgorithmE0EEyLj320ELj16ELj320ELj100EEvPKT0_PS4_.uses_flat_scratch, 0
	.set _Z6kernelI9histogramILN6hipcub23BlockHistogramAlgorithmE0EEyLj320ELj16ELj320ELj100EEvPKT0_PS4_.has_dyn_sized_stack, 0
	.set _Z6kernelI9histogramILN6hipcub23BlockHistogramAlgorithmE0EEyLj320ELj16ELj320ELj100EEvPKT0_PS4_.has_recursion, 0
	.set _Z6kernelI9histogramILN6hipcub23BlockHistogramAlgorithmE0EEyLj320ELj16ELj320ELj100EEvPKT0_PS4_.has_indirect_call, 0
	.section	.AMDGPU.csdata,"",@progbits
; Kernel info:
; codeLenInByte = 17676
; TotalNumSgprs: 104
; NumVgprs: 128
; ScratchSize: 832
; MemoryBound: 0
; FloatMode: 240
; IeeeMode: 1
; LDSByteSize: 2560 bytes/workgroup (compile time only)
; SGPRBlocks: 12
; VGPRBlocks: 31
; NumSGPRsForWavesPerEU: 104
; NumVGPRsForWavesPerEU: 128
; Occupancy: 2
; WaveLimiterHint : 0
; COMPUTE_PGM_RSRC2:SCRATCH_EN: 1
; COMPUTE_PGM_RSRC2:USER_SGPR: 6
; COMPUTE_PGM_RSRC2:TRAP_HANDLER: 0
; COMPUTE_PGM_RSRC2:TGID_X_EN: 1
; COMPUTE_PGM_RSRC2:TGID_Y_EN: 0
; COMPUTE_PGM_RSRC2:TGID_Z_EN: 0
; COMPUTE_PGM_RSRC2:TIDIG_COMP_CNT: 0
	.section	.text._Z6kernelI9histogramILN6hipcub23BlockHistogramAlgorithmE1EEiLj256ELj1ELj256ELj100EEvPKT0_PS4_,"axG",@progbits,_Z6kernelI9histogramILN6hipcub23BlockHistogramAlgorithmE1EEiLj256ELj1ELj256ELj100EEvPKT0_PS4_,comdat
	.protected	_Z6kernelI9histogramILN6hipcub23BlockHistogramAlgorithmE1EEiLj256ELj1ELj256ELj100EEvPKT0_PS4_ ; -- Begin function _Z6kernelI9histogramILN6hipcub23BlockHistogramAlgorithmE1EEiLj256ELj1ELj256ELj100EEvPKT0_PS4_
	.globl	_Z6kernelI9histogramILN6hipcub23BlockHistogramAlgorithmE1EEiLj256ELj1ELj256ELj100EEvPKT0_PS4_
	.p2align	8
	.type	_Z6kernelI9histogramILN6hipcub23BlockHistogramAlgorithmE1EEiLj256ELj1ELj256ELj100EEvPKT0_PS4_,@function
_Z6kernelI9histogramILN6hipcub23BlockHistogramAlgorithmE1EEiLj256ELj1ELj256ELj100EEvPKT0_PS4_: ; @_Z6kernelI9histogramILN6hipcub23BlockHistogramAlgorithmE1EEiLj256ELj1ELj256ELj100EEvPKT0_PS4_
; %bb.0:
	s_load_dwordx4 s[36:39], s[4:5], 0x0
	s_load_dword s30, s[4:5], 0x1c
	s_lshl_b32 s0, s6, 8
	v_mov_b32_e32 v7, 0
	v_or_b32_e32 v5, s0, v0
	v_mov_b32_e32 v6, v7
	v_lshlrev_b64 v[3:4], 2, v[5:6]
	s_waitcnt lgkmcnt(0)
	v_mov_b32_e32 v6, s37
	v_add_co_u32_e32 v3, vcc, s36, v3
	v_addc_co_u32_e32 v4, vcc, v6, v4, vcc
	global_load_dword v3, v[3:4], off
	v_mbcnt_lo_u32_b32 v4, -1, 0
	v_mbcnt_hi_u32_b32 v4, -1, v4
	v_mov_b32_e32 v8, 0x1010
	v_subrev_co_u32_e64 v26, s[8:9], 1, v4
	v_and_b32_e32 v27, 64, v4
	v_lshl_add_u32 v20, v0, 2, v8
	v_and_b32_e32 v8, 15, v4
	v_cmp_lt_i32_e64 s[28:29], v26, v27
	v_cmp_eq_u32_e64 s[12:13], 0, v8
	v_cmp_lt_u32_e64 s[14:15], 1, v8
	v_cmp_lt_u32_e64 s[16:17], 3, v8
	;; [unrolled: 1-line block ×3, first 2 shown]
	v_cndmask_b32_e64 v8, v26, v4, s[28:29]
	s_lshr_b32 s28, s30, 16
	s_and_b32 s29, s30, 0xffff
	v_mad_u32_u24 v1, v2, s28, v1
	v_mad_u64_u32 v[1:2], s[28:29], v1, s29, v[0:1]
	s_mov_b32 s34, 0
	v_and_b32_e32 v9, 0xc0, v0
	v_lshrrev_b32_e32 v10, 4, v0
	s_mov_b32 s36, s34
	v_lshlrev_b32_e32 v23, 4, v0
	v_and_b32_e32 v11, 16, v4
	v_or_b32_e32 v12, 63, v9
	s_movk_i32 s0, 0x100
	s_mov_b32 s35, s34
	s_mov_b32 s37, s34
	v_and_b32_e32 v28, 3, v4
	v_lshlrev_b32_e32 v29, 2, v9
	v_and_b32_e32 v24, 12, v10
	v_mad_i32_i24 v25, v0, -12, v23
	v_mov_b32_e32 v9, s34
	v_cmp_eq_u32_e64 s[20:21], 0, v11
	v_cmp_eq_u32_e64 s[22:23], v0, v12
	v_lshrrev_b32_e32 v1, 4, v1
	v_mov_b32_e32 v11, s36
	s_movk_i32 s33, 0x64
	s_movk_i32 s40, 0xff
	v_mov_b32_e32 v6, 0x100
	v_mov_b32_e32 v13, 4
	;; [unrolled: 1-line block ×10, first 2 shown]
	v_cmp_gt_u32_e32 vcc, s0, v0
	v_cmp_gt_u32_e64 s[0:1], 4, v0
	v_cmp_lt_u32_e64 s[2:3], 63, v0
	v_cmp_eq_u32_e64 s[4:5], 0, v0
	v_cmp_ne_u32_e64 s[6:7], 0, v0
	v_cmp_lt_u32_e64 s[10:11], 31, v4
	v_mov_b32_e32 v10, s35
	v_cmp_eq_u32_e64 s[24:25], 0, v28
	v_cmp_lt_u32_e64 s[26:27], 1, v28
	v_lshl_add_u32 v26, v4, 2, v29
	v_add_u32_e32 v27, -4, v24
	v_add_u32_e32 v28, -4, v25
	v_lshlrev_b32_e32 v29, 2, v8
	v_and_b32_e32 v30, 0xffffffc, v1
	v_mov_b32_e32 v12, s37
	s_waitcnt vmcnt(0)
	v_xor_b32_e32 v31, 0x80000000, v3
	s_branch .LBB30_2
.LBB30_1:                               ;   in Loop: Header=BB30_2 Depth=1
	s_or_b64 exec, exec, s[28:29]
	s_add_i32 s33, s33, -1
	s_cmp_eq_u32 s33, 0
	s_cbranch_scc1 .LBB30_45
.LBB30_2:                               ; =>This Inner Loop Header: Depth=1
	s_and_saveexec_b64 s[28:29], vcc
; %bb.3:                                ;   in Loop: Header=BB30_2 Depth=1
	ds_write_b32 v20, v7
; %bb.4:                                ;   in Loop: Header=BB30_2 Depth=1
	s_or_b64 exec, exec, s[28:29]
	v_and_b32_e32 v1, 1, v31
	v_add_co_u32_e64 v2, s[28:29], -1, v1
	v_addc_co_u32_e64 v4, s[28:29], 0, -1, s[28:29]
	v_cmp_ne_u32_e64 s[28:29], 0, v1
	v_lshlrev_b32_e32 v8, 30, v31
	v_xor_b32_e32 v1, s29, v4
	v_xor_b32_e32 v2, s28, v2
	v_cmp_gt_i64_e64 s[28:29], 0, v[7:8]
	v_not_b32_e32 v4, v8
	v_ashrrev_i32_e32 v4, 31, v4
	v_and_b32_e32 v1, exec_hi, v1
	v_xor_b32_e32 v8, s29, v4
	v_and_b32_e32 v2, exec_lo, v2
	v_xor_b32_e32 v4, s28, v4
	v_and_b32_e32 v1, v1, v8
	v_lshlrev_b32_e32 v8, 29, v31
	v_and_b32_e32 v2, v2, v4
	v_cmp_gt_i64_e64 s[28:29], 0, v[7:8]
	v_not_b32_e32 v4, v8
	v_ashrrev_i32_e32 v4, 31, v4
	v_xor_b32_e32 v8, s29, v4
	v_xor_b32_e32 v4, s28, v4
	v_and_b32_e32 v1, v1, v8
	v_lshlrev_b32_e32 v8, 28, v31
	v_and_b32_e32 v2, v2, v4
	v_cmp_gt_i64_e64 s[28:29], 0, v[7:8]
	v_not_b32_e32 v4, v8
	v_ashrrev_i32_e32 v4, 31, v4
	v_xor_b32_e32 v8, s29, v4
	;; [unrolled: 8-line block ×6, first 2 shown]
	v_xor_b32_e32 v32, s28, v2
	v_and_b32_e32 v2, v1, v8
	v_and_b32_e32 v1, v4, v32
	v_mbcnt_lo_u32_b32 v4, v1, 0
	v_mbcnt_hi_u32_b32 v8, v2, v4
	v_cmp_ne_u64_e64 s[28:29], 0, v[1:2]
	v_lshlrev_b32_sdwa v3, v13, v31 dst_sel:DWORD dst_unused:UNUSED_PAD src0_sel:DWORD src1_sel:BYTE_0
	v_cmp_eq_u32_e64 s[30:31], 0, v8
	s_and_b64 s[30:31], s[28:29], s[30:31]
	v_add_u32_e32 v32, v30, v3
	s_waitcnt lgkmcnt(0)
	s_barrier
	ds_write2_b64 v23, v[9:10], v[11:12] offset0:2 offset1:3
	s_waitcnt lgkmcnt(0)
	s_barrier
	; wave barrier
	s_and_saveexec_b64 s[28:29], s[30:31]
; %bb.5:                                ;   in Loop: Header=BB30_2 Depth=1
	v_bcnt_u32_b32 v1, v1, 0
	v_bcnt_u32_b32 v1, v2, v1
	ds_write_b32 v32, v1 offset:16
; %bb.6:                                ;   in Loop: Header=BB30_2 Depth=1
	s_or_b64 exec, exec, s[28:29]
	; wave barrier
	s_waitcnt lgkmcnt(0)
	s_barrier
	ds_read2_b64 v[1:4], v23 offset0:2 offset1:3
	s_waitcnt lgkmcnt(0)
	v_add_u32_e32 v33, v2, v1
	v_add3_u32 v4, v33, v3, v4
	s_nop 1
	v_mov_b32_dpp v33, v4 row_shr:1 row_mask:0xf bank_mask:0xf
	v_cndmask_b32_e64 v33, v33, 0, s[12:13]
	v_add_u32_e32 v4, v33, v4
	s_nop 1
	v_mov_b32_dpp v33, v4 row_shr:2 row_mask:0xf bank_mask:0xf
	v_cndmask_b32_e64 v33, 0, v33, s[14:15]
	v_add_u32_e32 v4, v4, v33
	;; [unrolled: 4-line block ×4, first 2 shown]
	s_nop 1
	v_mov_b32_dpp v33, v4 row_bcast:15 row_mask:0xf bank_mask:0xf
	v_cndmask_b32_e64 v33, v33, 0, s[20:21]
	v_add_u32_e32 v4, v4, v33
	s_nop 1
	v_mov_b32_dpp v33, v4 row_bcast:31 row_mask:0xf bank_mask:0xf
	v_cndmask_b32_e64 v33, 0, v33, s[10:11]
	v_add_u32_e32 v4, v4, v33
	s_and_saveexec_b64 s[28:29], s[22:23]
; %bb.7:                                ;   in Loop: Header=BB30_2 Depth=1
	ds_write_b32 v24, v4
; %bb.8:                                ;   in Loop: Header=BB30_2 Depth=1
	s_or_b64 exec, exec, s[28:29]
	s_waitcnt lgkmcnt(0)
	s_barrier
	s_and_saveexec_b64 s[28:29], s[0:1]
	s_cbranch_execz .LBB30_10
; %bb.9:                                ;   in Loop: Header=BB30_2 Depth=1
	ds_read_b32 v33, v25
	s_waitcnt lgkmcnt(0)
	s_nop 0
	v_mov_b32_dpp v34, v33 row_shr:1 row_mask:0xf bank_mask:0xf
	v_cndmask_b32_e64 v34, v34, 0, s[24:25]
	v_add_u32_e32 v33, v34, v33
	s_nop 1
	v_mov_b32_dpp v34, v33 row_shr:2 row_mask:0xf bank_mask:0xf
	v_cndmask_b32_e64 v34, 0, v34, s[26:27]
	v_add_u32_e32 v33, v33, v34
	ds_write_b32 v25, v33
.LBB30_10:                              ;   in Loop: Header=BB30_2 Depth=1
	s_or_b64 exec, exec, s[28:29]
	v_mov_b32_e32 v33, 0
	s_waitcnt lgkmcnt(0)
	s_barrier
	s_and_saveexec_b64 s[28:29], s[2:3]
; %bb.11:                               ;   in Loop: Header=BB30_2 Depth=1
	ds_read_b32 v33, v27
; %bb.12:                               ;   in Loop: Header=BB30_2 Depth=1
	s_or_b64 exec, exec, s[28:29]
	s_waitcnt lgkmcnt(0)
	v_add_u32_e32 v4, v33, v4
	ds_bpermute_b32 v4, v29, v4
	s_waitcnt lgkmcnt(0)
	v_cndmask_b32_e64 v4, v4, v33, s[8:9]
	v_cndmask_b32_e64 v33, v4, 0, s[4:5]
	v_add_u32_e32 v34, v33, v1
	v_add_u32_e32 v1, v34, v2
	;; [unrolled: 1-line block ×3, first 2 shown]
	ds_write2_b64 v23, v[33:34], v[1:2] offset0:2 offset1:3
	s_waitcnt lgkmcnt(0)
	s_barrier
	ds_read_b32 v1, v32 offset:16
	v_lshlrev_b32_e32 v2, 2, v8
	s_waitcnt lgkmcnt(0)
	s_barrier
	v_lshl_add_u32 v1, v1, 2, v2
	ds_write_b32 v1, v31
	s_waitcnt lgkmcnt(0)
	s_barrier
	ds_read_b32 v31, v26
	s_waitcnt lgkmcnt(0)
	s_barrier
	ds_write2_b64 v23, v[9:10], v[11:12] offset0:2 offset1:3
	v_lshrrev_b32_e32 v1, 8, v31
	v_and_b32_e32 v2, 1, v1
	v_add_co_u32_e64 v4, s[28:29], -1, v2
	v_addc_co_u32_e64 v8, s[28:29], 0, -1, s[28:29]
	v_cmp_ne_u32_e64 s[28:29], 0, v2
	v_xor_b32_e32 v2, s29, v8
	v_lshlrev_b32_e32 v8, 30, v1
	v_xor_b32_e32 v4, s28, v4
	v_cmp_gt_i64_e64 s[28:29], 0, v[7:8]
	v_not_b32_e32 v8, v8
	v_ashrrev_i32_e32 v8, 31, v8
	v_and_b32_e32 v4, exec_lo, v4
	v_xor_b32_e32 v32, s29, v8
	v_xor_b32_e32 v8, s28, v8
	v_and_b32_e32 v4, v4, v8
	v_lshlrev_b32_e32 v8, 29, v1
	v_cmp_gt_i64_e64 s[28:29], 0, v[7:8]
	v_not_b32_e32 v8, v8
	v_and_b32_e32 v2, exec_hi, v2
	v_ashrrev_i32_e32 v8, 31, v8
	v_and_b32_e32 v2, v2, v32
	v_xor_b32_e32 v32, s29, v8
	v_xor_b32_e32 v8, s28, v8
	v_and_b32_e32 v4, v4, v8
	v_lshlrev_b32_e32 v8, 28, v1
	v_cmp_gt_i64_e64 s[28:29], 0, v[7:8]
	v_not_b32_e32 v8, v8
	v_ashrrev_i32_e32 v8, 31, v8
	v_and_b32_e32 v2, v2, v32
	v_xor_b32_e32 v32, s29, v8
	v_xor_b32_e32 v8, s28, v8
	v_and_b32_e32 v4, v4, v8
	v_lshlrev_b32_e32 v8, 27, v1
	v_cmp_gt_i64_e64 s[28:29], 0, v[7:8]
	v_not_b32_e32 v8, v8
	;; [unrolled: 8-line block ×4, first 2 shown]
	v_ashrrev_i32_e32 v8, 31, v8
	v_and_b32_e32 v2, v2, v32
	v_xor_b32_e32 v32, s29, v8
	v_xor_b32_e32 v8, s28, v8
	v_and_b32_e32 v4, v4, v8
	v_lshlrev_b32_e32 v8, 24, v1
	v_lshlrev_b32_sdwa v3, v13, v1 dst_sel:DWORD dst_unused:UNUSED_PAD src0_sel:DWORD src1_sel:BYTE_0
	v_cmp_gt_i64_e64 s[28:29], 0, v[7:8]
	v_not_b32_e32 v1, v8
	v_ashrrev_i32_e32 v1, 31, v1
	v_xor_b32_e32 v8, s29, v1
	v_xor_b32_e32 v1, s28, v1
	v_and_b32_e32 v2, v2, v32
	v_and_b32_e32 v1, v4, v1
	;; [unrolled: 1-line block ×3, first 2 shown]
	v_mbcnt_lo_u32_b32 v4, v1, 0
	v_mbcnt_hi_u32_b32 v8, v2, v4
	v_cmp_ne_u64_e64 s[28:29], 0, v[1:2]
	v_cmp_eq_u32_e64 s[30:31], 0, v8
	s_and_b64 s[30:31], s[28:29], s[30:31]
	v_add_u32_e32 v32, v30, v3
	s_waitcnt lgkmcnt(0)
	s_barrier
	; wave barrier
	s_and_saveexec_b64 s[28:29], s[30:31]
; %bb.13:                               ;   in Loop: Header=BB30_2 Depth=1
	v_bcnt_u32_b32 v1, v1, 0
	v_bcnt_u32_b32 v1, v2, v1
	ds_write_b32 v32, v1 offset:16
; %bb.14:                               ;   in Loop: Header=BB30_2 Depth=1
	s_or_b64 exec, exec, s[28:29]
	; wave barrier
	s_waitcnt lgkmcnt(0)
	s_barrier
	ds_read2_b64 v[1:4], v23 offset0:2 offset1:3
	s_waitcnt lgkmcnt(0)
	v_add_u32_e32 v33, v2, v1
	v_add3_u32 v4, v33, v3, v4
	s_nop 1
	v_mov_b32_dpp v33, v4 row_shr:1 row_mask:0xf bank_mask:0xf
	v_cndmask_b32_e64 v33, v33, 0, s[12:13]
	v_add_u32_e32 v4, v33, v4
	s_nop 1
	v_mov_b32_dpp v33, v4 row_shr:2 row_mask:0xf bank_mask:0xf
	v_cndmask_b32_e64 v33, 0, v33, s[14:15]
	v_add_u32_e32 v4, v4, v33
	;; [unrolled: 4-line block ×4, first 2 shown]
	s_nop 1
	v_mov_b32_dpp v33, v4 row_bcast:15 row_mask:0xf bank_mask:0xf
	v_cndmask_b32_e64 v33, v33, 0, s[20:21]
	v_add_u32_e32 v4, v4, v33
	s_nop 1
	v_mov_b32_dpp v33, v4 row_bcast:31 row_mask:0xf bank_mask:0xf
	v_cndmask_b32_e64 v33, 0, v33, s[10:11]
	v_add_u32_e32 v4, v4, v33
	s_and_saveexec_b64 s[28:29], s[22:23]
; %bb.15:                               ;   in Loop: Header=BB30_2 Depth=1
	ds_write_b32 v24, v4
; %bb.16:                               ;   in Loop: Header=BB30_2 Depth=1
	s_or_b64 exec, exec, s[28:29]
	s_waitcnt lgkmcnt(0)
	s_barrier
	s_and_saveexec_b64 s[28:29], s[0:1]
	s_cbranch_execz .LBB30_18
; %bb.17:                               ;   in Loop: Header=BB30_2 Depth=1
	ds_read_b32 v33, v25
	s_waitcnt lgkmcnt(0)
	s_nop 0
	v_mov_b32_dpp v34, v33 row_shr:1 row_mask:0xf bank_mask:0xf
	v_cndmask_b32_e64 v34, v34, 0, s[24:25]
	v_add_u32_e32 v33, v34, v33
	s_nop 1
	v_mov_b32_dpp v34, v33 row_shr:2 row_mask:0xf bank_mask:0xf
	v_cndmask_b32_e64 v34, 0, v34, s[26:27]
	v_add_u32_e32 v33, v33, v34
	ds_write_b32 v25, v33
.LBB30_18:                              ;   in Loop: Header=BB30_2 Depth=1
	s_or_b64 exec, exec, s[28:29]
	v_mov_b32_e32 v33, 0
	s_waitcnt lgkmcnt(0)
	s_barrier
	s_and_saveexec_b64 s[28:29], s[2:3]
; %bb.19:                               ;   in Loop: Header=BB30_2 Depth=1
	ds_read_b32 v33, v27
; %bb.20:                               ;   in Loop: Header=BB30_2 Depth=1
	s_or_b64 exec, exec, s[28:29]
	s_waitcnt lgkmcnt(0)
	v_add_u32_e32 v4, v33, v4
	ds_bpermute_b32 v4, v29, v4
	s_waitcnt lgkmcnt(0)
	v_cndmask_b32_e64 v4, v4, v33, s[8:9]
	v_cndmask_b32_e64 v33, v4, 0, s[4:5]
	v_add_u32_e32 v34, v33, v1
	v_add_u32_e32 v1, v34, v2
	;; [unrolled: 1-line block ×3, first 2 shown]
	ds_write2_b64 v23, v[33:34], v[1:2] offset0:2 offset1:3
	s_waitcnt lgkmcnt(0)
	s_barrier
	ds_read_b32 v1, v32 offset:16
	v_lshlrev_b32_e32 v2, 2, v8
	s_waitcnt lgkmcnt(0)
	s_barrier
	v_lshl_add_u32 v1, v1, 2, v2
	ds_write_b32 v1, v31
	s_waitcnt lgkmcnt(0)
	s_barrier
	ds_read_b32 v31, v26
	v_mov_b32_e32 v1, s34
	v_mov_b32_e32 v3, s36
	;; [unrolled: 1-line block ×4, first 2 shown]
	s_waitcnt lgkmcnt(0)
	s_barrier
	ds_write2_b64 v23, v[1:2], v[3:4] offset0:2 offset1:3
	v_and_b32_sdwa v1, v31, s40 dst_sel:DWORD dst_unused:UNUSED_PAD src0_sel:WORD_1 src1_sel:DWORD
	v_lshlrev_b32_e32 v3, 4, v1
	v_and_b32_sdwa v1, v31, v14 dst_sel:DWORD dst_unused:UNUSED_PAD src0_sel:WORD_1 src1_sel:DWORD
	v_add_co_u32_e64 v2, s[28:29], -1, v1
	v_addc_co_u32_e64 v4, s[28:29], 0, -1, s[28:29]
	v_cmp_ne_u32_e64 s[28:29], 0, v1
	v_lshlrev_b32_sdwa v8, v15, v31 dst_sel:DWORD dst_unused:UNUSED_PAD src0_sel:DWORD src1_sel:WORD_1
	v_xor_b32_e32 v1, s29, v4
	v_xor_b32_e32 v2, s28, v2
	v_cmp_gt_i64_e64 s[28:29], 0, v[7:8]
	v_not_b32_e32 v4, v8
	v_ashrrev_i32_e32 v4, 31, v4
	v_and_b32_e32 v1, exec_hi, v1
	v_xor_b32_e32 v8, s29, v4
	v_and_b32_e32 v2, exec_lo, v2
	v_xor_b32_e32 v4, s28, v4
	v_and_b32_e32 v1, v1, v8
	v_lshlrev_b32_sdwa v8, v16, v31 dst_sel:DWORD dst_unused:UNUSED_PAD src0_sel:DWORD src1_sel:WORD_1
	v_and_b32_e32 v2, v2, v4
	v_cmp_gt_i64_e64 s[28:29], 0, v[7:8]
	v_not_b32_e32 v4, v8
	v_ashrrev_i32_e32 v4, 31, v4
	v_xor_b32_e32 v8, s29, v4
	v_xor_b32_e32 v4, s28, v4
	v_and_b32_e32 v1, v1, v8
	v_lshlrev_b32_sdwa v8, v17, v31 dst_sel:DWORD dst_unused:UNUSED_PAD src0_sel:DWORD src1_sel:WORD_1
	v_and_b32_e32 v2, v2, v4
	v_cmp_gt_i64_e64 s[28:29], 0, v[7:8]
	v_not_b32_e32 v4, v8
	v_ashrrev_i32_e32 v4, 31, v4
	v_xor_b32_e32 v8, s29, v4
	;; [unrolled: 8-line block ×6, first 2 shown]
	v_xor_b32_e32 v32, s28, v2
	v_and_b32_e32 v2, v1, v8
	v_and_b32_e32 v1, v4, v32
	v_mbcnt_lo_u32_b32 v4, v1, 0
	v_mbcnt_hi_u32_b32 v8, v2, v4
	v_cmp_ne_u64_e64 s[28:29], 0, v[1:2]
	v_cmp_eq_u32_e64 s[30:31], 0, v8
	s_and_b64 s[30:31], s[28:29], s[30:31]
	v_add_u32_e32 v32, v30, v3
	s_waitcnt lgkmcnt(0)
	s_barrier
	; wave barrier
	s_and_saveexec_b64 s[28:29], s[30:31]
; %bb.21:                               ;   in Loop: Header=BB30_2 Depth=1
	v_bcnt_u32_b32 v1, v1, 0
	v_bcnt_u32_b32 v1, v2, v1
	ds_write_b32 v32, v1 offset:16
; %bb.22:                               ;   in Loop: Header=BB30_2 Depth=1
	s_or_b64 exec, exec, s[28:29]
	; wave barrier
	s_waitcnt lgkmcnt(0)
	s_barrier
	ds_read2_b64 v[1:4], v23 offset0:2 offset1:3
	s_waitcnt lgkmcnt(0)
	v_add_u32_e32 v33, v2, v1
	v_add3_u32 v4, v33, v3, v4
	s_nop 1
	v_mov_b32_dpp v33, v4 row_shr:1 row_mask:0xf bank_mask:0xf
	v_cndmask_b32_e64 v33, v33, 0, s[12:13]
	v_add_u32_e32 v4, v33, v4
	s_nop 1
	v_mov_b32_dpp v33, v4 row_shr:2 row_mask:0xf bank_mask:0xf
	v_cndmask_b32_e64 v33, 0, v33, s[14:15]
	v_add_u32_e32 v4, v4, v33
	;; [unrolled: 4-line block ×4, first 2 shown]
	s_nop 1
	v_mov_b32_dpp v33, v4 row_bcast:15 row_mask:0xf bank_mask:0xf
	v_cndmask_b32_e64 v33, v33, 0, s[20:21]
	v_add_u32_e32 v4, v4, v33
	s_nop 1
	v_mov_b32_dpp v33, v4 row_bcast:31 row_mask:0xf bank_mask:0xf
	v_cndmask_b32_e64 v33, 0, v33, s[10:11]
	v_add_u32_e32 v4, v4, v33
	s_and_saveexec_b64 s[28:29], s[22:23]
; %bb.23:                               ;   in Loop: Header=BB30_2 Depth=1
	ds_write_b32 v24, v4
; %bb.24:                               ;   in Loop: Header=BB30_2 Depth=1
	s_or_b64 exec, exec, s[28:29]
	s_waitcnt lgkmcnt(0)
	s_barrier
	s_and_saveexec_b64 s[28:29], s[0:1]
	s_cbranch_execz .LBB30_26
; %bb.25:                               ;   in Loop: Header=BB30_2 Depth=1
	ds_read_b32 v33, v25
	s_waitcnt lgkmcnt(0)
	s_nop 0
	v_mov_b32_dpp v34, v33 row_shr:1 row_mask:0xf bank_mask:0xf
	v_cndmask_b32_e64 v34, v34, 0, s[24:25]
	v_add_u32_e32 v33, v34, v33
	s_nop 1
	v_mov_b32_dpp v34, v33 row_shr:2 row_mask:0xf bank_mask:0xf
	v_cndmask_b32_e64 v34, 0, v34, s[26:27]
	v_add_u32_e32 v33, v33, v34
	ds_write_b32 v25, v33
.LBB30_26:                              ;   in Loop: Header=BB30_2 Depth=1
	s_or_b64 exec, exec, s[28:29]
	v_mov_b32_e32 v33, 0
	s_waitcnt lgkmcnt(0)
	s_barrier
	s_and_saveexec_b64 s[28:29], s[2:3]
; %bb.27:                               ;   in Loop: Header=BB30_2 Depth=1
	ds_read_b32 v33, v27
; %bb.28:                               ;   in Loop: Header=BB30_2 Depth=1
	s_or_b64 exec, exec, s[28:29]
	s_waitcnt lgkmcnt(0)
	v_add_u32_e32 v4, v33, v4
	ds_bpermute_b32 v4, v29, v4
	s_waitcnt lgkmcnt(0)
	v_cndmask_b32_e64 v4, v4, v33, s[8:9]
	v_cndmask_b32_e64 v33, v4, 0, s[4:5]
	v_add_u32_e32 v34, v33, v1
	v_add_u32_e32 v1, v34, v2
	;; [unrolled: 1-line block ×3, first 2 shown]
	ds_write2_b64 v23, v[33:34], v[1:2] offset0:2 offset1:3
	s_waitcnt lgkmcnt(0)
	s_barrier
	ds_read_b32 v1, v32 offset:16
	v_lshlrev_b32_e32 v2, 2, v8
	s_waitcnt lgkmcnt(0)
	s_barrier
	v_lshl_add_u32 v1, v1, 2, v2
	ds_write_b32 v1, v31
	s_waitcnt lgkmcnt(0)
	s_barrier
	ds_read_b32 v31, v26
	v_mov_b32_e32 v1, s34
	v_mov_b32_e32 v3, s36
	;; [unrolled: 1-line block ×4, first 2 shown]
	s_waitcnt lgkmcnt(0)
	s_barrier
	ds_write2_b64 v23, v[1:2], v[3:4] offset0:2 offset1:3
	v_and_b32_sdwa v1, v31, v14 dst_sel:DWORD dst_unused:UNUSED_PAD src0_sel:BYTE_3 src1_sel:DWORD
	v_add_co_u32_e64 v2, s[28:29], -1, v1
	v_addc_co_u32_e64 v4, s[28:29], 0, -1, s[28:29]
	v_cmp_ne_u32_e64 s[28:29], 0, v1
	v_lshlrev_b32_sdwa v8, v15, v31 dst_sel:DWORD dst_unused:UNUSED_PAD src0_sel:DWORD src1_sel:BYTE_3
	v_xor_b32_e32 v1, s29, v4
	v_xor_b32_e32 v2, s28, v2
	v_cmp_gt_i64_e64 s[28:29], 0, v[7:8]
	v_not_b32_e32 v4, v8
	v_ashrrev_i32_e32 v4, 31, v4
	v_and_b32_e32 v1, exec_hi, v1
	v_xor_b32_e32 v8, s29, v4
	v_and_b32_e32 v2, exec_lo, v2
	v_xor_b32_e32 v4, s28, v4
	v_and_b32_e32 v1, v1, v8
	v_lshlrev_b32_sdwa v8, v16, v31 dst_sel:DWORD dst_unused:UNUSED_PAD src0_sel:DWORD src1_sel:BYTE_3
	v_and_b32_e32 v2, v2, v4
	v_cmp_gt_i64_e64 s[28:29], 0, v[7:8]
	v_not_b32_e32 v4, v8
	v_ashrrev_i32_e32 v4, 31, v4
	v_xor_b32_e32 v8, s29, v4
	v_xor_b32_e32 v4, s28, v4
	v_and_b32_e32 v1, v1, v8
	v_lshlrev_b32_sdwa v8, v17, v31 dst_sel:DWORD dst_unused:UNUSED_PAD src0_sel:DWORD src1_sel:BYTE_3
	v_and_b32_e32 v2, v2, v4
	v_cmp_gt_i64_e64 s[28:29], 0, v[7:8]
	v_not_b32_e32 v4, v8
	v_ashrrev_i32_e32 v4, 31, v4
	v_xor_b32_e32 v8, s29, v4
	v_xor_b32_e32 v4, s28, v4
	v_and_b32_e32 v1, v1, v8
	v_lshlrev_b32_sdwa v8, v18, v31 dst_sel:DWORD dst_unused:UNUSED_PAD src0_sel:DWORD src1_sel:BYTE_3
	v_and_b32_e32 v2, v2, v4
	v_cmp_gt_i64_e64 s[28:29], 0, v[7:8]
	v_not_b32_e32 v4, v8
	v_ashrrev_i32_e32 v4, 31, v4
	v_xor_b32_e32 v8, s29, v4
	v_xor_b32_e32 v4, s28, v4
	v_and_b32_e32 v1, v1, v8
	v_lshlrev_b32_sdwa v8, v19, v31 dst_sel:DWORD dst_unused:UNUSED_PAD src0_sel:DWORD src1_sel:BYTE_3
	v_and_b32_e32 v2, v2, v4
	v_cmp_gt_i64_e64 s[28:29], 0, v[7:8]
	v_not_b32_e32 v4, v8
	v_ashrrev_i32_e32 v4, 31, v4
	v_xor_b32_e32 v8, s29, v4
	v_xor_b32_e32 v4, s28, v4
	v_and_b32_e32 v1, v1, v8
	v_lshlrev_b32_sdwa v8, v21, v31 dst_sel:DWORD dst_unused:UNUSED_PAD src0_sel:DWORD src1_sel:BYTE_3
	v_and_b32_e32 v2, v2, v4
	v_cmp_gt_i64_e64 s[28:29], 0, v[7:8]
	v_not_b32_e32 v4, v8
	v_ashrrev_i32_e32 v4, 31, v4
	v_xor_b32_e32 v8, s29, v4
	v_xor_b32_e32 v4, s28, v4
	v_and_b32_e32 v1, v1, v8
	v_lshlrev_b32_sdwa v8, v22, v31 dst_sel:DWORD dst_unused:UNUSED_PAD src0_sel:DWORD src1_sel:BYTE_3
	v_and_b32_e32 v4, v2, v4
	v_cmp_gt_i64_e64 s[28:29], 0, v[7:8]
	v_not_b32_e32 v2, v8
	v_ashrrev_i32_e32 v2, 31, v2
	v_xor_b32_e32 v8, s29, v2
	v_xor_b32_e32 v32, s28, v2
	v_and_b32_e32 v2, v1, v8
	v_and_b32_e32 v1, v4, v32
	v_mbcnt_lo_u32_b32 v4, v1, 0
	v_mbcnt_hi_u32_b32 v8, v2, v4
	v_cmp_ne_u64_e64 s[28:29], 0, v[1:2]
	v_lshlrev_b32_sdwa v3, v13, v31 dst_sel:DWORD dst_unused:UNUSED_PAD src0_sel:DWORD src1_sel:BYTE_3
	v_cmp_eq_u32_e64 s[30:31], 0, v8
	s_and_b64 s[30:31], s[28:29], s[30:31]
	v_add_u32_e32 v32, v30, v3
	s_waitcnt lgkmcnt(0)
	s_barrier
	; wave barrier
	s_and_saveexec_b64 s[28:29], s[30:31]
; %bb.29:                               ;   in Loop: Header=BB30_2 Depth=1
	v_bcnt_u32_b32 v1, v1, 0
	v_bcnt_u32_b32 v1, v2, v1
	ds_write_b32 v32, v1 offset:16
; %bb.30:                               ;   in Loop: Header=BB30_2 Depth=1
	s_or_b64 exec, exec, s[28:29]
	; wave barrier
	s_waitcnt lgkmcnt(0)
	s_barrier
	ds_read2_b64 v[1:4], v23 offset0:2 offset1:3
	s_waitcnt lgkmcnt(0)
	v_add_u32_e32 v33, v2, v1
	v_add3_u32 v4, v33, v3, v4
	s_nop 1
	v_mov_b32_dpp v33, v4 row_shr:1 row_mask:0xf bank_mask:0xf
	v_cndmask_b32_e64 v33, v33, 0, s[12:13]
	v_add_u32_e32 v4, v33, v4
	s_nop 1
	v_mov_b32_dpp v33, v4 row_shr:2 row_mask:0xf bank_mask:0xf
	v_cndmask_b32_e64 v33, 0, v33, s[14:15]
	v_add_u32_e32 v4, v4, v33
	;; [unrolled: 4-line block ×4, first 2 shown]
	s_nop 1
	v_mov_b32_dpp v33, v4 row_bcast:15 row_mask:0xf bank_mask:0xf
	v_cndmask_b32_e64 v33, v33, 0, s[20:21]
	v_add_u32_e32 v4, v4, v33
	s_nop 1
	v_mov_b32_dpp v33, v4 row_bcast:31 row_mask:0xf bank_mask:0xf
	v_cndmask_b32_e64 v33, 0, v33, s[10:11]
	v_add_u32_e32 v4, v4, v33
	s_and_saveexec_b64 s[28:29], s[22:23]
; %bb.31:                               ;   in Loop: Header=BB30_2 Depth=1
	ds_write_b32 v24, v4
; %bb.32:                               ;   in Loop: Header=BB30_2 Depth=1
	s_or_b64 exec, exec, s[28:29]
	s_waitcnt lgkmcnt(0)
	s_barrier
	s_and_saveexec_b64 s[28:29], s[0:1]
	s_cbranch_execz .LBB30_34
; %bb.33:                               ;   in Loop: Header=BB30_2 Depth=1
	ds_read_b32 v33, v25
	s_waitcnt lgkmcnt(0)
	s_nop 0
	v_mov_b32_dpp v34, v33 row_shr:1 row_mask:0xf bank_mask:0xf
	v_cndmask_b32_e64 v34, v34, 0, s[24:25]
	v_add_u32_e32 v33, v34, v33
	s_nop 1
	v_mov_b32_dpp v34, v33 row_shr:2 row_mask:0xf bank_mask:0xf
	v_cndmask_b32_e64 v34, 0, v34, s[26:27]
	v_add_u32_e32 v33, v33, v34
	ds_write_b32 v25, v33
.LBB30_34:                              ;   in Loop: Header=BB30_2 Depth=1
	s_or_b64 exec, exec, s[28:29]
	v_mov_b32_e32 v33, 0
	s_waitcnt lgkmcnt(0)
	s_barrier
	s_and_saveexec_b64 s[28:29], s[2:3]
; %bb.35:                               ;   in Loop: Header=BB30_2 Depth=1
	ds_read_b32 v33, v27
; %bb.36:                               ;   in Loop: Header=BB30_2 Depth=1
	s_or_b64 exec, exec, s[28:29]
	s_waitcnt lgkmcnt(0)
	v_add_u32_e32 v4, v33, v4
	ds_bpermute_b32 v4, v29, v4
	s_waitcnt lgkmcnt(0)
	v_cndmask_b32_e64 v4, v4, v33, s[8:9]
	v_cndmask_b32_e64 v33, v4, 0, s[4:5]
	v_add_u32_e32 v34, v33, v1
	v_add_u32_e32 v1, v34, v2
	;; [unrolled: 1-line block ×3, first 2 shown]
	ds_write2_b64 v23, v[33:34], v[1:2] offset0:2 offset1:3
	s_waitcnt lgkmcnt(0)
	s_barrier
	ds_read_b32 v1, v32 offset:16
	v_lshlrev_b32_e32 v2, 2, v8
	s_waitcnt lgkmcnt(0)
	s_barrier
	v_lshl_add_u32 v1, v1, 2, v2
	ds_write_b32 v1, v31
	s_waitcnt lgkmcnt(0)
	s_barrier
	ds_read_b32 v31, v25
	s_waitcnt lgkmcnt(0)
	s_barrier
	s_and_saveexec_b64 s[28:29], vcc
; %bb.37:                               ;   in Loop: Header=BB30_2 Depth=1
	ds_write2st64_b32 v25, v6, v6 offset0:8 offset1:12
; %bb.38:                               ;   in Loop: Header=BB30_2 Depth=1
	s_or_b64 exec, exec, s[28:29]
	v_xor_b32_e32 v1, 0x80000000, v31
	s_waitcnt lgkmcnt(0)
	s_barrier
	ds_write_b32 v25, v1
	s_waitcnt lgkmcnt(0)
	s_barrier
	s_and_saveexec_b64 s[30:31], s[6:7]
	s_cbranch_execz .LBB30_41
; %bb.39:                               ;   in Loop: Header=BB30_2 Depth=1
	ds_read_b32 v2, v28
	s_waitcnt lgkmcnt(0)
	v_cmp_ne_u32_e64 s[28:29], v2, v1
	s_and_b64 exec, exec, s[28:29]
	s_cbranch_execz .LBB30_41
; %bb.40:                               ;   in Loop: Header=BB30_2 Depth=1
	v_lshlrev_b32_e32 v2, 2, v1
	ds_write_b32 v2, v0 offset:2048
	ds_read_b32 v2, v28
	s_waitcnt lgkmcnt(0)
	v_lshlrev_b32_e32 v2, 2, v2
	ds_write_b32 v2, v0 offset:3072
.LBB30_41:                              ;   in Loop: Header=BB30_2 Depth=1
	s_or_b64 exec, exec, s[30:31]
	s_waitcnt lgkmcnt(0)
	s_barrier
	s_and_saveexec_b64 s[28:29], s[4:5]
; %bb.42:                               ;   in Loop: Header=BB30_2 Depth=1
	v_lshlrev_b32_e32 v1, 2, v1
	ds_write_b32 v1, v7 offset:2048
; %bb.43:                               ;   in Loop: Header=BB30_2 Depth=1
	s_or_b64 exec, exec, s[28:29]
	s_waitcnt lgkmcnt(0)
	s_barrier
	s_and_saveexec_b64 s[28:29], vcc
	s_cbranch_execz .LBB30_1
; %bb.44:                               ;   in Loop: Header=BB30_2 Depth=1
	ds_read2st64_b32 v[1:2], v25 offset0:8 offset1:12
	ds_read_b32 v3, v20
	s_waitcnt lgkmcnt(1)
	v_sub_u32_e32 v1, v2, v1
	s_waitcnt lgkmcnt(0)
	v_add_u32_e32 v1, v1, v3
	ds_write_b32 v20, v1
	s_branch .LBB30_1
.LBB30_45:
	s_and_saveexec_b64 s[0:1], vcc
	s_cbranch_execz .LBB30_47
; %bb.46:
	v_mov_b32_e32 v6, 0
	ds_read_b32 v3, v20
	v_lshlrev_b64 v[0:1], 2, v[5:6]
	v_mov_b32_e32 v2, s39
	v_add_co_u32_e32 v0, vcc, s38, v0
	v_addc_co_u32_e32 v1, vcc, v2, v1, vcc
	s_waitcnt lgkmcnt(0)
	global_store_dword v[0:1], v3, off
.LBB30_47:
	s_endpgm
	.section	.rodata,"a",@progbits
	.p2align	6, 0x0
	.amdhsa_kernel _Z6kernelI9histogramILN6hipcub23BlockHistogramAlgorithmE1EEiLj256ELj1ELj256ELj100EEvPKT0_PS4_
		.amdhsa_group_segment_fixed_size 5136
		.amdhsa_private_segment_fixed_size 0
		.amdhsa_kernarg_size 272
		.amdhsa_user_sgpr_count 6
		.amdhsa_user_sgpr_private_segment_buffer 1
		.amdhsa_user_sgpr_dispatch_ptr 0
		.amdhsa_user_sgpr_queue_ptr 0
		.amdhsa_user_sgpr_kernarg_segment_ptr 1
		.amdhsa_user_sgpr_dispatch_id 0
		.amdhsa_user_sgpr_flat_scratch_init 0
		.amdhsa_user_sgpr_private_segment_size 0
		.amdhsa_uses_dynamic_stack 0
		.amdhsa_system_sgpr_private_segment_wavefront_offset 0
		.amdhsa_system_sgpr_workgroup_id_x 1
		.amdhsa_system_sgpr_workgroup_id_y 0
		.amdhsa_system_sgpr_workgroup_id_z 0
		.amdhsa_system_sgpr_workgroup_info 0
		.amdhsa_system_vgpr_workitem_id 2
		.amdhsa_next_free_vgpr 35
		.amdhsa_next_free_sgpr 41
		.amdhsa_reserve_vcc 1
		.amdhsa_reserve_flat_scratch 0
		.amdhsa_float_round_mode_32 0
		.amdhsa_float_round_mode_16_64 0
		.amdhsa_float_denorm_mode_32 3
		.amdhsa_float_denorm_mode_16_64 3
		.amdhsa_dx10_clamp 1
		.amdhsa_ieee_mode 1
		.amdhsa_fp16_overflow 0
		.amdhsa_exception_fp_ieee_invalid_op 0
		.amdhsa_exception_fp_denorm_src 0
		.amdhsa_exception_fp_ieee_div_zero 0
		.amdhsa_exception_fp_ieee_overflow 0
		.amdhsa_exception_fp_ieee_underflow 0
		.amdhsa_exception_fp_ieee_inexact 0
		.amdhsa_exception_int_div_zero 0
	.end_amdhsa_kernel
	.section	.text._Z6kernelI9histogramILN6hipcub23BlockHistogramAlgorithmE1EEiLj256ELj1ELj256ELj100EEvPKT0_PS4_,"axG",@progbits,_Z6kernelI9histogramILN6hipcub23BlockHistogramAlgorithmE1EEiLj256ELj1ELj256ELj100EEvPKT0_PS4_,comdat
.Lfunc_end30:
	.size	_Z6kernelI9histogramILN6hipcub23BlockHistogramAlgorithmE1EEiLj256ELj1ELj256ELj100EEvPKT0_PS4_, .Lfunc_end30-_Z6kernelI9histogramILN6hipcub23BlockHistogramAlgorithmE1EEiLj256ELj1ELj256ELj100EEvPKT0_PS4_
                                        ; -- End function
	.set _Z6kernelI9histogramILN6hipcub23BlockHistogramAlgorithmE1EEiLj256ELj1ELj256ELj100EEvPKT0_PS4_.num_vgpr, 35
	.set _Z6kernelI9histogramILN6hipcub23BlockHistogramAlgorithmE1EEiLj256ELj1ELj256ELj100EEvPKT0_PS4_.num_agpr, 0
	.set _Z6kernelI9histogramILN6hipcub23BlockHistogramAlgorithmE1EEiLj256ELj1ELj256ELj100EEvPKT0_PS4_.numbered_sgpr, 41
	.set _Z6kernelI9histogramILN6hipcub23BlockHistogramAlgorithmE1EEiLj256ELj1ELj256ELj100EEvPKT0_PS4_.num_named_barrier, 0
	.set _Z6kernelI9histogramILN6hipcub23BlockHistogramAlgorithmE1EEiLj256ELj1ELj256ELj100EEvPKT0_PS4_.private_seg_size, 0
	.set _Z6kernelI9histogramILN6hipcub23BlockHistogramAlgorithmE1EEiLj256ELj1ELj256ELj100EEvPKT0_PS4_.uses_vcc, 1
	.set _Z6kernelI9histogramILN6hipcub23BlockHistogramAlgorithmE1EEiLj256ELj1ELj256ELj100EEvPKT0_PS4_.uses_flat_scratch, 0
	.set _Z6kernelI9histogramILN6hipcub23BlockHistogramAlgorithmE1EEiLj256ELj1ELj256ELj100EEvPKT0_PS4_.has_dyn_sized_stack, 0
	.set _Z6kernelI9histogramILN6hipcub23BlockHistogramAlgorithmE1EEiLj256ELj1ELj256ELj100EEvPKT0_PS4_.has_recursion, 0
	.set _Z6kernelI9histogramILN6hipcub23BlockHistogramAlgorithmE1EEiLj256ELj1ELj256ELj100EEvPKT0_PS4_.has_indirect_call, 0
	.section	.AMDGPU.csdata,"",@progbits
; Kernel info:
; codeLenInByte = 4152
; TotalNumSgprs: 45
; NumVgprs: 35
; ScratchSize: 0
; MemoryBound: 0
; FloatMode: 240
; IeeeMode: 1
; LDSByteSize: 5136 bytes/workgroup (compile time only)
; SGPRBlocks: 5
; VGPRBlocks: 8
; NumSGPRsForWavesPerEU: 45
; NumVGPRsForWavesPerEU: 35
; Occupancy: 7
; WaveLimiterHint : 0
; COMPUTE_PGM_RSRC2:SCRATCH_EN: 0
; COMPUTE_PGM_RSRC2:USER_SGPR: 6
; COMPUTE_PGM_RSRC2:TRAP_HANDLER: 0
; COMPUTE_PGM_RSRC2:TGID_X_EN: 1
; COMPUTE_PGM_RSRC2:TGID_Y_EN: 0
; COMPUTE_PGM_RSRC2:TGID_Z_EN: 0
; COMPUTE_PGM_RSRC2:TIDIG_COMP_CNT: 2
	.section	.text._Z6kernelI9histogramILN6hipcub23BlockHistogramAlgorithmE1EEiLj256ELj2ELj256ELj100EEvPKT0_PS4_,"axG",@progbits,_Z6kernelI9histogramILN6hipcub23BlockHistogramAlgorithmE1EEiLj256ELj2ELj256ELj100EEvPKT0_PS4_,comdat
	.protected	_Z6kernelI9histogramILN6hipcub23BlockHistogramAlgorithmE1EEiLj256ELj2ELj256ELj100EEvPKT0_PS4_ ; -- Begin function _Z6kernelI9histogramILN6hipcub23BlockHistogramAlgorithmE1EEiLj256ELj2ELj256ELj100EEvPKT0_PS4_
	.globl	_Z6kernelI9histogramILN6hipcub23BlockHistogramAlgorithmE1EEiLj256ELj2ELj256ELj100EEvPKT0_PS4_
	.p2align	8
	.type	_Z6kernelI9histogramILN6hipcub23BlockHistogramAlgorithmE1EEiLj256ELj2ELj256ELj100EEvPKT0_PS4_,@function
_Z6kernelI9histogramILN6hipcub23BlockHistogramAlgorithmE1EEiLj256ELj2ELj256ELj100EEvPKT0_PS4_: ; @_Z6kernelI9histogramILN6hipcub23BlockHistogramAlgorithmE1EEiLj256ELj2ELj256ELj100EEvPKT0_PS4_
; %bb.0:
	s_load_dwordx4 s[36:39], s[4:5], 0x0
	s_load_dword s7, s[4:5], 0x1c
	v_lshlrev_b32_e32 v11, 1, v0
	v_mov_b32_e32 v5, 0
	v_lshl_or_b32 v3, s6, 9, v11
	v_mov_b32_e32 v4, v5
	v_lshlrev_b64 v[3:4], 2, v[3:4]
	s_waitcnt lgkmcnt(0)
	v_mov_b32_e32 v6, s37
	v_add_co_u32_e32 v3, vcc, s36, v3
	v_addc_co_u32_e32 v4, vcc, v6, v4, vcc
	global_load_dwordx2 v[3:4], v[3:4], off
	s_lshr_b32 s4, s7, 16
	v_mbcnt_lo_u32_b32 v6, -1, 0
	s_and_b32 s5, s7, 0xffff
	v_mad_u32_u24 v1, v2, s4, v1
	v_mbcnt_hi_u32_b32 v6, -1, v6
	v_mad_u64_u32 v[1:2], s[4:5], v1, s5, v[0:1]
	v_and_b32_e32 v2, 15, v6
	v_cmp_eq_u32_e64 s[4:5], 0, v2
	v_cmp_lt_u32_e64 s[34:35], 1, v2
	v_cmp_lt_u32_e64 s[8:9], 3, v2
	;; [unrolled: 1-line block ×3, first 2 shown]
	v_and_b32_e32 v2, 16, v6
	v_and_b32_e32 v8, 1, v6
	v_cmp_eq_u32_e64 s[12:13], 0, v2
	v_or_b32_e32 v2, 63, v0
	v_cmp_eq_u32_e64 s[2:3], 0, v8
	v_and_b32_e32 v8, 64, v6
	v_cmp_eq_u32_e64 s[16:17], v0, v2
	v_subrev_co_u32_e64 v2, s[22:23], 1, v6
	v_cmp_lt_i32_e32 vcc, v2, v8
	v_cndmask_b32_e32 v2, v2, v6, vcc
	v_lshlrev_b32_e32 v16, 2, v2
	v_lshrrev_b32_e32 v2, 4, v0
	v_and_b32_e32 v17, 12, v2
	v_and_b32_e32 v2, 3, v6
	v_cmp_eq_u32_e64 s[28:29], 0, v2
	v_cmp_lt_u32_e64 s[30:31], 1, v2
	v_lshlrev_b32_e32 v2, 3, v0
	s_mov_b32 s40, 0
	v_lshrrev_b32_e32 v7, 1, v6
	v_lshlrev_b32_e32 v14, 4, v0
	v_and_b32_e32 v2, 0x600, v2
	v_or_b32_e32 v7, v7, v8
	v_mad_i32_i24 v18, v0, -12, v14
	v_lshl_or_b32 v19, v6, 2, v2
	v_lshlrev_b32_e32 v2, 2, v0
	s_mov_b32 s36, s40
	s_movk_i32 s0, 0x100
	v_lshlrev_b32_e32 v12, 2, v7
	v_add_u32_e32 v20, v18, v2
	v_add_u32_e32 v15, 0x1010, v2
	v_sub_u32_e32 v2, 0, v2
	v_lshrrev_b32_e32 v1, 4, v1
	s_mov_b32 s41, s40
	s_mov_b32 s37, s40
	v_mov_b32_e32 v7, s40
	v_mov_b32_e32 v9, s36
	v_cmp_gt_u32_e64 s[0:1], s0, v0
	v_xor_b32_e32 v13, 0x80, v12
	v_cmp_lt_u32_e64 s[14:15], 31, v6
	v_cmp_gt_u32_e64 s[18:19], 4, v0
	v_cmp_lt_u32_e64 s[20:21], 63, v0
	v_cmp_eq_u32_e64 s[24:25], 0, v0
	v_cmp_ne_u32_e64 s[26:27], 0, v0
	v_or_b32_e32 v21, 1, v11
	v_and_b32_e32 v22, 0xffffffc, v1
	v_add_u32_e32 v23, v20, v2
	v_add_u32_e32 v24, -4, v18
	v_mov_b32_e32 v25, 4
	v_mov_b32_e32 v8, s41
	v_mov_b32_e32 v10, s37
	s_branch .LBB31_2
.LBB31_1:                               ;   in Loop: Header=BB31_2 Depth=1
	s_or_b64 exec, exec, s[36:37]
	s_add_i32 s40, s40, 1
	s_cmpk_eq_i32 s40, 0x64
	s_cbranch_scc1 .LBB31_29
.LBB31_2:                               ; =>This Loop Header: Depth=1
                                        ;     Child Loop BB31_6 Depth 2
	s_and_saveexec_b64 s[36:37], s[0:1]
; %bb.3:                                ;   in Loop: Header=BB31_2 Depth=1
	ds_write_b32 v15, v5
; %bb.4:                                ;   in Loop: Header=BB31_2 Depth=1
	s_or_b64 exec, exec, s[36:37]
	s_waitcnt vmcnt(0)
	v_xor_b32_e32 v1, 0x80000000, v3
	v_xor_b32_e32 v2, 0x80000000, v4
	ds_bpermute_b32 v3, v12, v1
	ds_bpermute_b32 v4, v12, v2
	;; [unrolled: 1-line block ×4, first 2 shown]
	v_mov_b32_e32 v27, 0
	s_waitcnt lgkmcnt(0)
	v_cndmask_b32_e64 v1, v4, v3, s[2:3]
	s_barrier
	v_cndmask_b32_e64 v2, v2, v6, s[2:3]
	s_barrier
	s_branch .LBB31_6
.LBB31_5:                               ;   in Loop: Header=BB31_6 Depth=2
	s_andn2_b64 vcc, exec, s[36:37]
	s_cbranch_vccz .LBB31_18
.LBB31_6:                               ;   Parent Loop BB31_2 Depth=1
                                        ; =>  This Inner Loop Header: Depth=2
	v_mov_b32_e32 v28, v1
	v_lshrrev_b32_e32 v1, v27, v28
	v_mov_b32_e32 v26, v2
	v_and_b32_e32 v2, 1, v1
	v_add_co_u32_e32 v4, vcc, -1, v2
	v_addc_co_u32_e64 v6, s[36:37], 0, -1, vcc
	v_cmp_ne_u32_e32 vcc, 0, v2
	v_xor_b32_e32 v2, vcc_hi, v6
	v_lshlrev_b32_e32 v6, 30, v1
	v_xor_b32_e32 v4, vcc_lo, v4
	v_cmp_gt_i64_e32 vcc, 0, v[5:6]
	v_not_b32_e32 v6, v6
	v_ashrrev_i32_e32 v6, 31, v6
	v_and_b32_e32 v4, exec_lo, v4
	v_xor_b32_e32 v29, vcc_hi, v6
	v_xor_b32_e32 v6, vcc_lo, v6
	v_and_b32_e32 v4, v4, v6
	v_lshlrev_b32_e32 v6, 29, v1
	v_cmp_gt_i64_e32 vcc, 0, v[5:6]
	v_not_b32_e32 v6, v6
	v_and_b32_e32 v2, exec_hi, v2
	v_ashrrev_i32_e32 v6, 31, v6
	v_and_b32_e32 v2, v2, v29
	v_xor_b32_e32 v29, vcc_hi, v6
	v_xor_b32_e32 v6, vcc_lo, v6
	v_and_b32_e32 v4, v4, v6
	v_lshlrev_b32_e32 v6, 28, v1
	v_cmp_gt_i64_e32 vcc, 0, v[5:6]
	v_not_b32_e32 v6, v6
	v_ashrrev_i32_e32 v6, 31, v6
	v_and_b32_e32 v2, v2, v29
	v_xor_b32_e32 v29, vcc_hi, v6
	v_xor_b32_e32 v6, vcc_lo, v6
	v_and_b32_e32 v4, v4, v6
	v_lshlrev_b32_e32 v6, 27, v1
	v_cmp_gt_i64_e32 vcc, 0, v[5:6]
	v_not_b32_e32 v6, v6
	;; [unrolled: 8-line block ×4, first 2 shown]
	v_ashrrev_i32_e32 v6, 31, v6
	v_and_b32_e32 v2, v2, v29
	v_xor_b32_e32 v29, vcc_hi, v6
	v_xor_b32_e32 v6, vcc_lo, v6
	v_and_b32_e32 v4, v4, v6
	v_lshlrev_b32_e32 v6, 24, v1
	v_lshlrev_b32_sdwa v3, v25, v1 dst_sel:DWORD dst_unused:UNUSED_PAD src0_sel:DWORD src1_sel:BYTE_0
	v_cmp_gt_i64_e32 vcc, 0, v[5:6]
	v_not_b32_e32 v1, v6
	v_ashrrev_i32_e32 v1, 31, v1
	v_xor_b32_e32 v6, vcc_hi, v1
	v_xor_b32_e32 v1, vcc_lo, v1
	v_and_b32_e32 v2, v2, v29
	v_and_b32_e32 v1, v4, v1
	v_and_b32_e32 v2, v2, v6
	v_mbcnt_lo_u32_b32 v4, v1, 0
	v_mbcnt_hi_u32_b32 v29, v2, v4
	v_cmp_ne_u64_e32 vcc, 0, v[1:2]
	v_cmp_eq_u32_e64 s[36:37], 0, v29
	s_and_b64 s[42:43], vcc, s[36:37]
	v_add_u32_e32 v30, v22, v3
	ds_write2_b64 v14, v[7:8], v[9:10] offset0:2 offset1:3
	s_waitcnt lgkmcnt(0)
	s_barrier
	; wave barrier
	s_and_saveexec_b64 s[36:37], s[42:43]
; %bb.7:                                ;   in Loop: Header=BB31_6 Depth=2
	v_bcnt_u32_b32 v1, v1, 0
	v_bcnt_u32_b32 v1, v2, v1
	ds_write_b32 v30, v1 offset:16
; %bb.8:                                ;   in Loop: Header=BB31_6 Depth=2
	s_or_b64 exec, exec, s[36:37]
	v_lshrrev_b32_e32 v1, v27, v26
	v_lshlrev_b32_sdwa v2, v25, v1 dst_sel:DWORD dst_unused:UNUSED_PAD src0_sel:DWORD src1_sel:BYTE_0
	v_add_u32_e32 v32, v22, v2
	v_and_b32_e32 v2, 1, v1
	v_add_co_u32_e32 v3, vcc, -1, v2
	v_addc_co_u32_e64 v4, s[36:37], 0, -1, vcc
	v_cmp_ne_u32_e32 vcc, 0, v2
	v_lshlrev_b32_e32 v6, 30, v1
	v_xor_b32_e32 v2, vcc_hi, v4
	v_xor_b32_e32 v3, vcc_lo, v3
	v_cmp_gt_i64_e32 vcc, 0, v[5:6]
	v_not_b32_e32 v4, v6
	v_ashrrev_i32_e32 v4, 31, v4
	v_and_b32_e32 v2, exec_hi, v2
	v_xor_b32_e32 v6, vcc_hi, v4
	v_and_b32_e32 v3, exec_lo, v3
	v_xor_b32_e32 v4, vcc_lo, v4
	v_and_b32_e32 v2, v2, v6
	v_lshlrev_b32_e32 v6, 29, v1
	v_and_b32_e32 v3, v3, v4
	v_cmp_gt_i64_e32 vcc, 0, v[5:6]
	v_not_b32_e32 v4, v6
	v_ashrrev_i32_e32 v4, 31, v4
	v_xor_b32_e32 v6, vcc_hi, v4
	v_xor_b32_e32 v4, vcc_lo, v4
	v_and_b32_e32 v2, v2, v6
	v_lshlrev_b32_e32 v6, 28, v1
	v_and_b32_e32 v3, v3, v4
	v_cmp_gt_i64_e32 vcc, 0, v[5:6]
	v_not_b32_e32 v4, v6
	v_ashrrev_i32_e32 v4, 31, v4
	v_xor_b32_e32 v6, vcc_hi, v4
	;; [unrolled: 8-line block ×5, first 2 shown]
	v_and_b32_e32 v2, v2, v6
	v_lshlrev_b32_e32 v6, 24, v1
	v_xor_b32_e32 v4, vcc_lo, v4
	v_cmp_gt_i64_e32 vcc, 0, v[5:6]
	v_not_b32_e32 v1, v6
	v_ashrrev_i32_e32 v1, 31, v1
	v_and_b32_e32 v3, v3, v4
	v_xor_b32_e32 v4, vcc_hi, v1
	v_xor_b32_e32 v1, vcc_lo, v1
	; wave barrier
	ds_read_b32 v31, v32 offset:16
	v_and_b32_e32 v1, v3, v1
	v_and_b32_e32 v2, v2, v4
	v_mbcnt_lo_u32_b32 v3, v1, 0
	v_mbcnt_hi_u32_b32 v6, v2, v3
	v_cmp_ne_u64_e32 vcc, 0, v[1:2]
	v_cmp_eq_u32_e64 s[36:37], 0, v6
	s_and_b64 s[42:43], vcc, s[36:37]
	; wave barrier
	s_and_saveexec_b64 s[36:37], s[42:43]
	s_cbranch_execz .LBB31_10
; %bb.9:                                ;   in Loop: Header=BB31_6 Depth=2
	v_bcnt_u32_b32 v1, v1, 0
	v_bcnt_u32_b32 v1, v2, v1
	s_waitcnt lgkmcnt(0)
	v_add_u32_e32 v1, v31, v1
	ds_write_b32 v32, v1 offset:16
.LBB31_10:                              ;   in Loop: Header=BB31_6 Depth=2
	s_or_b64 exec, exec, s[36:37]
	; wave barrier
	s_waitcnt lgkmcnt(0)
	s_barrier
	ds_read2_b64 v[1:4], v14 offset0:2 offset1:3
	s_waitcnt lgkmcnt(0)
	v_add_u32_e32 v33, v2, v1
	v_add3_u32 v4, v33, v3, v4
	s_nop 1
	v_mov_b32_dpp v33, v4 row_shr:1 row_mask:0xf bank_mask:0xf
	v_cndmask_b32_e64 v33, v33, 0, s[4:5]
	v_add_u32_e32 v4, v33, v4
	s_nop 1
	v_mov_b32_dpp v33, v4 row_shr:2 row_mask:0xf bank_mask:0xf
	v_cndmask_b32_e64 v33, 0, v33, s[34:35]
	v_add_u32_e32 v4, v4, v33
	;; [unrolled: 4-line block ×4, first 2 shown]
	s_nop 1
	v_mov_b32_dpp v33, v4 row_bcast:15 row_mask:0xf bank_mask:0xf
	v_cndmask_b32_e64 v33, v33, 0, s[12:13]
	v_add_u32_e32 v4, v4, v33
	s_nop 1
	v_mov_b32_dpp v33, v4 row_bcast:31 row_mask:0xf bank_mask:0xf
	v_cndmask_b32_e64 v33, 0, v33, s[14:15]
	v_add_u32_e32 v4, v4, v33
	s_and_saveexec_b64 s[36:37], s[16:17]
; %bb.11:                               ;   in Loop: Header=BB31_6 Depth=2
	ds_write_b32 v17, v4
; %bb.12:                               ;   in Loop: Header=BB31_6 Depth=2
	s_or_b64 exec, exec, s[36:37]
	s_waitcnt lgkmcnt(0)
	s_barrier
	s_and_saveexec_b64 s[36:37], s[18:19]
	s_cbranch_execz .LBB31_14
; %bb.13:                               ;   in Loop: Header=BB31_6 Depth=2
	ds_read_b32 v33, v18
	s_waitcnt lgkmcnt(0)
	s_nop 0
	v_mov_b32_dpp v34, v33 row_shr:1 row_mask:0xf bank_mask:0xf
	v_cndmask_b32_e64 v34, v34, 0, s[28:29]
	v_add_u32_e32 v33, v34, v33
	s_nop 1
	v_mov_b32_dpp v34, v33 row_shr:2 row_mask:0xf bank_mask:0xf
	v_cndmask_b32_e64 v34, 0, v34, s[30:31]
	v_add_u32_e32 v33, v33, v34
	ds_write_b32 v18, v33
.LBB31_14:                              ;   in Loop: Header=BB31_6 Depth=2
	s_or_b64 exec, exec, s[36:37]
	v_mov_b32_e32 v33, 0
	s_waitcnt lgkmcnt(0)
	s_barrier
	s_and_saveexec_b64 s[36:37], s[20:21]
; %bb.15:                               ;   in Loop: Header=BB31_6 Depth=2
	v_add_u32_e32 v33, -4, v17
	ds_read_b32 v33, v33
; %bb.16:                               ;   in Loop: Header=BB31_6 Depth=2
	s_or_b64 exec, exec, s[36:37]
	s_waitcnt lgkmcnt(0)
	v_add_u32_e32 v4, v33, v4
	ds_bpermute_b32 v4, v16, v4
	v_cmp_lt_u32_e32 vcc, 23, v27
	s_and_b64 vcc, exec, vcc
	s_mov_b64 s[36:37], -1
	s_waitcnt lgkmcnt(0)
	v_cndmask_b32_e64 v4, v4, v33, s[22:23]
	v_cndmask_b32_e64 v33, v4, 0, s[24:25]
	v_add_u32_e32 v34, v33, v1
	v_add_u32_e32 v1, v34, v2
	;; [unrolled: 1-line block ×3, first 2 shown]
	ds_write2_b64 v14, v[33:34], v[1:2] offset0:2 offset1:3
	s_waitcnt lgkmcnt(0)
	s_barrier
	ds_read_b32 v1, v30 offset:16
	ds_read_b32 v2, v32 offset:16
	s_waitcnt lgkmcnt(1)
	v_add_u32_e32 v4, v1, v29
	s_waitcnt lgkmcnt(0)
	v_add3_u32 v3, v6, v31, v2
                                        ; implicit-def: $vgpr2
	s_cbranch_vccnz .LBB31_5
; %bb.17:                               ;   in Loop: Header=BB31_6 Depth=2
	v_lshlrev_b32_e32 v1, 2, v4
	s_barrier
	ds_write_b32 v1, v28
	v_lshlrev_b32_e32 v1, 2, v3
	ds_write_b32 v1, v26
	s_waitcnt lgkmcnt(0)
	s_barrier
	ds_read2st64_b32 v[1:2], v19 offset1:1
	v_add_u32_e32 v27, 8, v27
	s_mov_b64 s[36:37], 0
	s_waitcnt lgkmcnt(0)
	s_barrier
	s_branch .LBB31_5
.LBB31_18:                              ;   in Loop: Header=BB31_2 Depth=1
	v_lshlrev_b32_e32 v1, 2, v4
	s_barrier
	ds_write_b32 v1, v28
	v_lshlrev_b32_e32 v1, 2, v3
	ds_write_b32 v1, v26
	s_waitcnt lgkmcnt(0)
	s_barrier
	ds_read_b64 v[1:2], v20
	s_waitcnt lgkmcnt(0)
	s_barrier
	s_and_saveexec_b64 s[36:37], s[0:1]
; %bb.19:                               ;   in Loop: Header=BB31_2 Depth=1
	v_mov_b32_e32 v3, 0x200
	ds_write2st64_b32 v23, v3, v3 offset0:8 offset1:12
; %bb.20:                               ;   in Loop: Header=BB31_2 Depth=1
	s_or_b64 exec, exec, s[36:37]
	v_xor_b32_e32 v3, 0x80000000, v1
	v_xor_b32_e32 v4, 0x80000000, v2
	v_cmp_ne_u32_e32 vcc, v1, v2
	v_lshlrev_b32_e32 v1, 2, v3
	s_waitcnt lgkmcnt(0)
	s_barrier
	ds_write_b32 v18, v4
	s_and_saveexec_b64 s[36:37], vcc
	s_cbranch_execz .LBB31_22
; %bb.21:                               ;   in Loop: Header=BB31_2 Depth=1
	v_lshlrev_b32_e32 v2, 2, v4
	ds_write_b32 v2, v21 offset:2048
	ds_write_b32 v1, v21 offset:3072
.LBB31_22:                              ;   in Loop: Header=BB31_2 Depth=1
	s_or_b64 exec, exec, s[36:37]
	s_waitcnt lgkmcnt(0)
	s_barrier
	s_and_saveexec_b64 s[36:37], s[26:27]
	s_cbranch_execz .LBB31_25
; %bb.23:                               ;   in Loop: Header=BB31_2 Depth=1
	ds_read_b32 v2, v24
	s_waitcnt lgkmcnt(0)
	v_cmp_ne_u32_e32 vcc, v2, v3
	s_and_b64 exec, exec, vcc
	s_cbranch_execz .LBB31_25
; %bb.24:                               ;   in Loop: Header=BB31_2 Depth=1
	ds_write_b32 v1, v11 offset:2048
	ds_read_b32 v2, v24
	s_waitcnt lgkmcnt(0)
	v_lshlrev_b32_e32 v2, 2, v2
	ds_write_b32 v2, v11 offset:3072
.LBB31_25:                              ;   in Loop: Header=BB31_2 Depth=1
	s_or_b64 exec, exec, s[36:37]
	s_waitcnt lgkmcnt(0)
	s_barrier
	s_and_saveexec_b64 s[36:37], s[24:25]
; %bb.26:                               ;   in Loop: Header=BB31_2 Depth=1
	ds_write_b32 v1, v5 offset:2048
; %bb.27:                               ;   in Loop: Header=BB31_2 Depth=1
	s_or_b64 exec, exec, s[36:37]
	s_waitcnt lgkmcnt(0)
	s_barrier
	s_and_saveexec_b64 s[36:37], s[0:1]
	s_cbranch_execz .LBB31_1
; %bb.28:                               ;   in Loop: Header=BB31_2 Depth=1
	ds_read2st64_b32 v[1:2], v23 offset0:8 offset1:12
	ds_read_b32 v6, v15
	s_waitcnt lgkmcnt(1)
	v_sub_u32_e32 v1, v2, v1
	s_waitcnt lgkmcnt(0)
	v_add_u32_e32 v1, v1, v6
	ds_write_b32 v15, v1
	s_branch .LBB31_1
.LBB31_29:
	s_and_saveexec_b64 s[2:3], s[0:1]
	s_cbranch_execz .LBB31_31
; %bb.30:
	v_lshl_or_b32 v0, s6, 8, v0
	v_mov_b32_e32 v1, 0
	ds_read_b32 v3, v15
	v_lshlrev_b64 v[0:1], 2, v[0:1]
	v_mov_b32_e32 v2, s39
	v_add_co_u32_e32 v0, vcc, s38, v0
	v_addc_co_u32_e32 v1, vcc, v2, v1, vcc
	s_waitcnt lgkmcnt(0)
	global_store_dword v[0:1], v3, off
.LBB31_31:
	s_endpgm
	.section	.rodata,"a",@progbits
	.p2align	6, 0x0
	.amdhsa_kernel _Z6kernelI9histogramILN6hipcub23BlockHistogramAlgorithmE1EEiLj256ELj2ELj256ELj100EEvPKT0_PS4_
		.amdhsa_group_segment_fixed_size 5136
		.amdhsa_private_segment_fixed_size 0
		.amdhsa_kernarg_size 272
		.amdhsa_user_sgpr_count 6
		.amdhsa_user_sgpr_private_segment_buffer 1
		.amdhsa_user_sgpr_dispatch_ptr 0
		.amdhsa_user_sgpr_queue_ptr 0
		.amdhsa_user_sgpr_kernarg_segment_ptr 1
		.amdhsa_user_sgpr_dispatch_id 0
		.amdhsa_user_sgpr_flat_scratch_init 0
		.amdhsa_user_sgpr_private_segment_size 0
		.amdhsa_uses_dynamic_stack 0
		.amdhsa_system_sgpr_private_segment_wavefront_offset 0
		.amdhsa_system_sgpr_workgroup_id_x 1
		.amdhsa_system_sgpr_workgroup_id_y 0
		.amdhsa_system_sgpr_workgroup_id_z 0
		.amdhsa_system_sgpr_workgroup_info 0
		.amdhsa_system_vgpr_workitem_id 2
		.amdhsa_next_free_vgpr 35
		.amdhsa_next_free_sgpr 44
		.amdhsa_reserve_vcc 1
		.amdhsa_reserve_flat_scratch 0
		.amdhsa_float_round_mode_32 0
		.amdhsa_float_round_mode_16_64 0
		.amdhsa_float_denorm_mode_32 3
		.amdhsa_float_denorm_mode_16_64 3
		.amdhsa_dx10_clamp 1
		.amdhsa_ieee_mode 1
		.amdhsa_fp16_overflow 0
		.amdhsa_exception_fp_ieee_invalid_op 0
		.amdhsa_exception_fp_denorm_src 0
		.amdhsa_exception_fp_ieee_div_zero 0
		.amdhsa_exception_fp_ieee_overflow 0
		.amdhsa_exception_fp_ieee_underflow 0
		.amdhsa_exception_fp_ieee_inexact 0
		.amdhsa_exception_int_div_zero 0
	.end_amdhsa_kernel
	.section	.text._Z6kernelI9histogramILN6hipcub23BlockHistogramAlgorithmE1EEiLj256ELj2ELj256ELj100EEvPKT0_PS4_,"axG",@progbits,_Z6kernelI9histogramILN6hipcub23BlockHistogramAlgorithmE1EEiLj256ELj2ELj256ELj100EEvPKT0_PS4_,comdat
.Lfunc_end31:
	.size	_Z6kernelI9histogramILN6hipcub23BlockHistogramAlgorithmE1EEiLj256ELj2ELj256ELj100EEvPKT0_PS4_, .Lfunc_end31-_Z6kernelI9histogramILN6hipcub23BlockHistogramAlgorithmE1EEiLj256ELj2ELj256ELj100EEvPKT0_PS4_
                                        ; -- End function
	.set _Z6kernelI9histogramILN6hipcub23BlockHistogramAlgorithmE1EEiLj256ELj2ELj256ELj100EEvPKT0_PS4_.num_vgpr, 35
	.set _Z6kernelI9histogramILN6hipcub23BlockHistogramAlgorithmE1EEiLj256ELj2ELj256ELj100EEvPKT0_PS4_.num_agpr, 0
	.set _Z6kernelI9histogramILN6hipcub23BlockHistogramAlgorithmE1EEiLj256ELj2ELj256ELj100EEvPKT0_PS4_.numbered_sgpr, 44
	.set _Z6kernelI9histogramILN6hipcub23BlockHistogramAlgorithmE1EEiLj256ELj2ELj256ELj100EEvPKT0_PS4_.num_named_barrier, 0
	.set _Z6kernelI9histogramILN6hipcub23BlockHistogramAlgorithmE1EEiLj256ELj2ELj256ELj100EEvPKT0_PS4_.private_seg_size, 0
	.set _Z6kernelI9histogramILN6hipcub23BlockHistogramAlgorithmE1EEiLj256ELj2ELj256ELj100EEvPKT0_PS4_.uses_vcc, 1
	.set _Z6kernelI9histogramILN6hipcub23BlockHistogramAlgorithmE1EEiLj256ELj2ELj256ELj100EEvPKT0_PS4_.uses_flat_scratch, 0
	.set _Z6kernelI9histogramILN6hipcub23BlockHistogramAlgorithmE1EEiLj256ELj2ELj256ELj100EEvPKT0_PS4_.has_dyn_sized_stack, 0
	.set _Z6kernelI9histogramILN6hipcub23BlockHistogramAlgorithmE1EEiLj256ELj2ELj256ELj100EEvPKT0_PS4_.has_recursion, 0
	.set _Z6kernelI9histogramILN6hipcub23BlockHistogramAlgorithmE1EEiLj256ELj2ELj256ELj100EEvPKT0_PS4_.has_indirect_call, 0
	.section	.AMDGPU.csdata,"",@progbits
; Kernel info:
; codeLenInByte = 2140
; TotalNumSgprs: 48
; NumVgprs: 35
; ScratchSize: 0
; MemoryBound: 0
; FloatMode: 240
; IeeeMode: 1
; LDSByteSize: 5136 bytes/workgroup (compile time only)
; SGPRBlocks: 5
; VGPRBlocks: 8
; NumSGPRsForWavesPerEU: 48
; NumVGPRsForWavesPerEU: 35
; Occupancy: 7
; WaveLimiterHint : 0
; COMPUTE_PGM_RSRC2:SCRATCH_EN: 0
; COMPUTE_PGM_RSRC2:USER_SGPR: 6
; COMPUTE_PGM_RSRC2:TRAP_HANDLER: 0
; COMPUTE_PGM_RSRC2:TGID_X_EN: 1
; COMPUTE_PGM_RSRC2:TGID_Y_EN: 0
; COMPUTE_PGM_RSRC2:TGID_Z_EN: 0
; COMPUTE_PGM_RSRC2:TIDIG_COMP_CNT: 2
	.section	.text._Z6kernelI9histogramILN6hipcub23BlockHistogramAlgorithmE1EEiLj256ELj3ELj256ELj100EEvPKT0_PS4_,"axG",@progbits,_Z6kernelI9histogramILN6hipcub23BlockHistogramAlgorithmE1EEiLj256ELj3ELj256ELj100EEvPKT0_PS4_,comdat
	.protected	_Z6kernelI9histogramILN6hipcub23BlockHistogramAlgorithmE1EEiLj256ELj3ELj256ELj100EEvPKT0_PS4_ ; -- Begin function _Z6kernelI9histogramILN6hipcub23BlockHistogramAlgorithmE1EEiLj256ELj3ELj256ELj100EEvPKT0_PS4_
	.globl	_Z6kernelI9histogramILN6hipcub23BlockHistogramAlgorithmE1EEiLj256ELj3ELj256ELj100EEvPKT0_PS4_
	.p2align	8
	.type	_Z6kernelI9histogramILN6hipcub23BlockHistogramAlgorithmE1EEiLj256ELj3ELj256ELj100EEvPKT0_PS4_,@function
_Z6kernelI9histogramILN6hipcub23BlockHistogramAlgorithmE1EEiLj256ELj3ELj256ELj100EEvPKT0_PS4_: ; @_Z6kernelI9histogramILN6hipcub23BlockHistogramAlgorithmE1EEiLj256ELj3ELj256ELj100EEvPKT0_PS4_
; %bb.0:
	s_lshl_b32 s0, s6, 8
	s_load_dwordx4 s[36:39], s[4:5], 0x0
	s_load_dword s2, s[4:5], 0x1c
	v_or_b32_e32 v4, s0, v0
	v_mov_b32_e32 v5, 0
	v_lshl_add_u32 v6, v4, 1, v4
	v_mov_b32_e32 v7, v5
	v_lshlrev_b64 v[7:8], 2, v[6:7]
	v_add_u32_e32 v9, 1, v6
	v_mov_b32_e32 v10, v5
	s_waitcnt lgkmcnt(0)
	v_mov_b32_e32 v3, s37
	v_add_co_u32_e32 v7, vcc, s36, v7
	v_lshlrev_b64 v[9:10], 2, v[9:10]
	v_addc_co_u32_e32 v8, vcc, v3, v8, vcc
	v_add_u32_e32 v11, 2, v6
	v_mov_b32_e32 v12, v5
	v_add_co_u32_e32 v9, vcc, s36, v9
	v_lshlrev_b64 v[11:12], 2, v[11:12]
	v_addc_co_u32_e32 v10, vcc, v3, v10, vcc
	v_add_co_u32_e32 v11, vcc, s36, v11
	v_addc_co_u32_e32 v12, vcc, v3, v12, vcc
	global_load_dword v29, v[7:8], off
	global_load_dword v3, v[9:10], off
	;; [unrolled: 1-line block ×3, first 2 shown]
	s_lshr_b32 s3, s2, 16
	v_mbcnt_lo_u32_b32 v7, -1, 0
	s_and_b32 s2, s2, 0xffff
	v_mad_u32_u24 v1, v2, s3, v1
	v_mbcnt_hi_u32_b32 v7, -1, v7
	v_mad_u64_u32 v[1:2], s[2:3], v1, s2, v[0:1]
	v_and_b32_e32 v2, 15, v7
	v_cmp_eq_u32_e64 s[2:3], 0, v2
	v_cmp_lt_u32_e64 s[4:5], 1, v2
	v_cmp_lt_u32_e64 s[6:7], 3, v2
	;; [unrolled: 1-line block ×3, first 2 shown]
	v_and_b32_e32 v2, 16, v7
	v_cmp_eq_u32_e64 s[10:11], 0, v2
	v_and_b32_e32 v2, 0xc0, v0
	v_and_b32_e32 v12, 3, v7
	s_movk_i32 s0, 0x100
	v_lshrrev_b32_e32 v8, 6, v0
	v_lshlrev_b32_e32 v11, 4, v0
	v_or_b32_e32 v9, 63, v2
	v_cmp_eq_u32_e64 s[24:25], 0, v12
	v_cmp_lt_u32_e64 s[26:27], 1, v12
	v_mov_b32_e32 v12, 0x1010
	v_cmp_gt_u32_e64 s[0:1], s0, v0
	v_cmp_eq_u32_e64 s[12:13], v0, v9
	v_cmp_gt_u32_e64 s[14:15], 4, v0
	v_cmp_lt_u32_e64 s[16:17], 63, v0
	v_subrev_co_u32_e64 v9, s[18:19], 1, v7
	v_and_b32_e32 v10, 64, v7
	v_cmp_eq_u32_e64 s[20:21], 0, v0
	v_cmp_ne_u32_e64 s[22:23], 0, v0
	v_mad_i32_i24 v13, v0, -12, v11
	v_mul_u32_u24_e32 v14, 3, v0
	v_lshlrev_b32_e32 v23, 3, v0
	v_lshl_add_u32 v12, v0, 2, v12
	v_mad_u32_u24 v15, v0, 3, 2
	v_mad_u32_u24 v16, v0, 3, 1
	v_lshrrev_b32_e32 v0, 4, v1
	v_mul_u32_u24_e32 v1, 0xc0, v8
	v_lshlrev_b32_e32 v1, 2, v1
	v_cmp_lt_i32_e32 vcc, v9, v10
	v_cmp_lt_u32_e64 s[28:29], 31, v7
	v_cndmask_b32_e32 v9, v9, v7, vcc
	v_mad_u32_u24 v17, v7, 12, v1
	v_lshlrev_b32_e32 v7, 2, v7
	s_mov_b32 s34, 0
	v_add_u32_e32 v18, v7, v1
	v_mul_u32_u24_e32 v1, 12, v2
	s_mov_b32 s30, s34
	v_add_u32_e32 v19, v7, v1
	v_lshlrev_b32_e32 v20, 2, v9
	v_lshlrev_b32_e32 v21, 2, v8
	v_add_u32_e32 v22, v13, v23
	v_sub_u32_e32 v1, 0, v23
	s_mov_b32 s35, s34
	s_mov_b32 s31, s34
	v_mov_b32_e32 v7, s34
	v_mov_b32_e32 v9, s30
	v_and_b32_e32 v23, 0xffffffc, v0
	v_add_u32_e32 v24, v22, v1
	v_add_u32_e32 v25, -4, v21
	v_add_u32_e32 v26, -4, v13
	v_mov_b32_e32 v27, 0x300
	v_mov_b32_e32 v28, 4
	;; [unrolled: 1-line block ×4, first 2 shown]
	s_branch .LBB32_2
.LBB32_1:                               ;   in Loop: Header=BB32_2 Depth=1
	s_or_b64 exec, exec, s[30:31]
	s_add_i32 s34, s34, 1
	s_cmpk_eq_i32 s34, 0x64
	s_cbranch_scc1 .LBB32_33
.LBB32_2:                               ; =>This Loop Header: Depth=1
                                        ;     Child Loop BB32_6 Depth 2
	s_and_saveexec_b64 s[30:31], s[0:1]
; %bb.3:                                ;   in Loop: Header=BB32_2 Depth=1
	ds_write_b32 v12, v5
; %bb.4:                                ;   in Loop: Header=BB32_2 Depth=1
	s_or_b64 exec, exec, s[30:31]
	s_waitcnt vmcnt(2)
	v_xor_b32_e32 v0, 0x80000000, v29
	s_waitcnt vmcnt(1)
	v_xor_b32_e32 v1, 0x80000000, v3
	s_waitcnt vmcnt(0) lgkmcnt(0)
	s_barrier
	v_xor_b32_e32 v2, 0x80000000, v6
	ds_write2_b32 v17, v0, v1 offset1:1
	ds_write_b32 v17, v2 offset:8
	; wave barrier
	ds_read2st64_b32 v[0:1], v18 offset1:1
	ds_read_b32 v6, v18 offset:512
	v_mov_b32_e32 v31, 0
	s_waitcnt lgkmcnt(0)
	s_barrier
	; wave barrier
	s_barrier
	s_branch .LBB32_6
.LBB32_5:                               ;   in Loop: Header=BB32_6 Depth=2
	s_andn2_b64 vcc, exec, s[30:31]
	s_cbranch_vccz .LBB32_20
.LBB32_6:                               ;   Parent Loop BB32_2 Depth=1
                                        ; =>  This Inner Loop Header: Depth=2
	v_mov_b32_e32 v32, v0
	v_lshrrev_b32_e32 v0, v31, v32
	v_mov_b32_e32 v30, v1
	v_and_b32_e32 v1, 1, v0
	v_add_co_u32_e32 v3, vcc, -1, v1
	v_mov_b32_e32 v29, v6
	v_addc_co_u32_e64 v6, s[30:31], 0, -1, vcc
	v_cmp_ne_u32_e32 vcc, 0, v1
	v_xor_b32_e32 v1, vcc_hi, v6
	v_lshlrev_b32_e32 v6, 30, v0
	v_xor_b32_e32 v3, vcc_lo, v3
	v_cmp_gt_i64_e32 vcc, 0, v[5:6]
	v_not_b32_e32 v6, v6
	v_ashrrev_i32_e32 v6, 31, v6
	v_and_b32_e32 v3, exec_lo, v3
	v_xor_b32_e32 v33, vcc_hi, v6
	v_xor_b32_e32 v6, vcc_lo, v6
	v_and_b32_e32 v3, v3, v6
	v_lshlrev_b32_e32 v6, 29, v0
	v_cmp_gt_i64_e32 vcc, 0, v[5:6]
	v_not_b32_e32 v6, v6
	v_and_b32_e32 v1, exec_hi, v1
	v_ashrrev_i32_e32 v6, 31, v6
	v_and_b32_e32 v1, v1, v33
	v_xor_b32_e32 v33, vcc_hi, v6
	v_xor_b32_e32 v6, vcc_lo, v6
	v_and_b32_e32 v3, v3, v6
	v_lshlrev_b32_e32 v6, 28, v0
	v_cmp_gt_i64_e32 vcc, 0, v[5:6]
	v_not_b32_e32 v6, v6
	v_ashrrev_i32_e32 v6, 31, v6
	v_and_b32_e32 v1, v1, v33
	v_xor_b32_e32 v33, vcc_hi, v6
	v_xor_b32_e32 v6, vcc_lo, v6
	v_and_b32_e32 v3, v3, v6
	v_lshlrev_b32_e32 v6, 27, v0
	v_cmp_gt_i64_e32 vcc, 0, v[5:6]
	v_not_b32_e32 v6, v6
	;; [unrolled: 8-line block ×4, first 2 shown]
	v_ashrrev_i32_e32 v6, 31, v6
	v_and_b32_e32 v1, v1, v33
	v_xor_b32_e32 v33, vcc_hi, v6
	v_xor_b32_e32 v6, vcc_lo, v6
	v_and_b32_e32 v3, v3, v6
	v_lshlrev_b32_e32 v6, 24, v0
	v_lshlrev_b32_sdwa v2, v28, v0 dst_sel:DWORD dst_unused:UNUSED_PAD src0_sel:DWORD src1_sel:BYTE_0
	v_cmp_gt_i64_e32 vcc, 0, v[5:6]
	v_not_b32_e32 v0, v6
	v_ashrrev_i32_e32 v0, 31, v0
	v_xor_b32_e32 v6, vcc_hi, v0
	v_xor_b32_e32 v0, vcc_lo, v0
	v_and_b32_e32 v1, v1, v33
	v_and_b32_e32 v0, v3, v0
	;; [unrolled: 1-line block ×3, first 2 shown]
	v_mbcnt_lo_u32_b32 v3, v0, 0
	v_mbcnt_hi_u32_b32 v33, v1, v3
	v_cmp_ne_u64_e32 vcc, 0, v[0:1]
	v_cmp_eq_u32_e64 s[30:31], 0, v33
	s_and_b64 s[36:37], vcc, s[30:31]
	v_add_u32_e32 v34, v23, v2
	ds_write2_b64 v11, v[7:8], v[9:10] offset0:2 offset1:3
	s_waitcnt lgkmcnt(0)
	s_barrier
	; wave barrier
	s_and_saveexec_b64 s[30:31], s[36:37]
; %bb.7:                                ;   in Loop: Header=BB32_6 Depth=2
	v_bcnt_u32_b32 v0, v0, 0
	v_bcnt_u32_b32 v0, v1, v0
	ds_write_b32 v34, v0 offset:16
; %bb.8:                                ;   in Loop: Header=BB32_6 Depth=2
	s_or_b64 exec, exec, s[30:31]
	v_lshrrev_b32_e32 v0, v31, v30
	v_lshlrev_b32_sdwa v1, v28, v0 dst_sel:DWORD dst_unused:UNUSED_PAD src0_sel:DWORD src1_sel:BYTE_0
	v_add_u32_e32 v36, v23, v1
	v_and_b32_e32 v1, 1, v0
	v_add_co_u32_e32 v2, vcc, -1, v1
	v_addc_co_u32_e64 v3, s[30:31], 0, -1, vcc
	v_cmp_ne_u32_e32 vcc, 0, v1
	v_lshlrev_b32_e32 v6, 30, v0
	v_xor_b32_e32 v1, vcc_hi, v3
	v_xor_b32_e32 v2, vcc_lo, v2
	v_cmp_gt_i64_e32 vcc, 0, v[5:6]
	v_not_b32_e32 v3, v6
	v_ashrrev_i32_e32 v3, 31, v3
	v_and_b32_e32 v1, exec_hi, v1
	v_xor_b32_e32 v6, vcc_hi, v3
	v_and_b32_e32 v2, exec_lo, v2
	v_xor_b32_e32 v3, vcc_lo, v3
	v_and_b32_e32 v1, v1, v6
	v_lshlrev_b32_e32 v6, 29, v0
	v_and_b32_e32 v2, v2, v3
	v_cmp_gt_i64_e32 vcc, 0, v[5:6]
	v_not_b32_e32 v3, v6
	v_ashrrev_i32_e32 v3, 31, v3
	v_xor_b32_e32 v6, vcc_hi, v3
	v_xor_b32_e32 v3, vcc_lo, v3
	v_and_b32_e32 v1, v1, v6
	v_lshlrev_b32_e32 v6, 28, v0
	v_and_b32_e32 v2, v2, v3
	v_cmp_gt_i64_e32 vcc, 0, v[5:6]
	v_not_b32_e32 v3, v6
	v_ashrrev_i32_e32 v3, 31, v3
	v_xor_b32_e32 v6, vcc_hi, v3
	;; [unrolled: 8-line block ×5, first 2 shown]
	v_and_b32_e32 v1, v1, v6
	v_lshlrev_b32_e32 v6, 24, v0
	v_xor_b32_e32 v3, vcc_lo, v3
	v_cmp_gt_i64_e32 vcc, 0, v[5:6]
	v_not_b32_e32 v0, v6
	v_ashrrev_i32_e32 v0, 31, v0
	v_and_b32_e32 v2, v2, v3
	v_xor_b32_e32 v3, vcc_hi, v0
	v_xor_b32_e32 v0, vcc_lo, v0
	; wave barrier
	ds_read_b32 v35, v36 offset:16
	v_and_b32_e32 v0, v2, v0
	v_and_b32_e32 v1, v1, v3
	v_mbcnt_lo_u32_b32 v2, v0, 0
	v_mbcnt_hi_u32_b32 v37, v1, v2
	v_cmp_ne_u64_e32 vcc, 0, v[0:1]
	v_cmp_eq_u32_e64 s[30:31], 0, v37
	s_and_b64 s[36:37], vcc, s[30:31]
	; wave barrier
	s_and_saveexec_b64 s[30:31], s[36:37]
	s_cbranch_execz .LBB32_10
; %bb.9:                                ;   in Loop: Header=BB32_6 Depth=2
	v_bcnt_u32_b32 v0, v0, 0
	v_bcnt_u32_b32 v0, v1, v0
	s_waitcnt lgkmcnt(0)
	v_add_u32_e32 v0, v35, v0
	ds_write_b32 v36, v0 offset:16
.LBB32_10:                              ;   in Loop: Header=BB32_6 Depth=2
	s_or_b64 exec, exec, s[30:31]
	v_lshrrev_b32_e32 v0, v31, v29
	v_lshlrev_b32_sdwa v1, v28, v0 dst_sel:DWORD dst_unused:UNUSED_PAD src0_sel:DWORD src1_sel:BYTE_0
	v_add_u32_e32 v39, v23, v1
	v_and_b32_e32 v1, 1, v0
	v_add_co_u32_e32 v2, vcc, -1, v1
	v_addc_co_u32_e64 v3, s[30:31], 0, -1, vcc
	v_cmp_ne_u32_e32 vcc, 0, v1
	v_lshlrev_b32_e32 v6, 30, v0
	v_xor_b32_e32 v1, vcc_hi, v3
	v_xor_b32_e32 v2, vcc_lo, v2
	v_cmp_gt_i64_e32 vcc, 0, v[5:6]
	v_not_b32_e32 v3, v6
	v_ashrrev_i32_e32 v3, 31, v3
	v_and_b32_e32 v1, exec_hi, v1
	v_xor_b32_e32 v6, vcc_hi, v3
	v_and_b32_e32 v2, exec_lo, v2
	v_xor_b32_e32 v3, vcc_lo, v3
	v_and_b32_e32 v1, v1, v6
	v_lshlrev_b32_e32 v6, 29, v0
	v_and_b32_e32 v2, v2, v3
	v_cmp_gt_i64_e32 vcc, 0, v[5:6]
	v_not_b32_e32 v3, v6
	v_ashrrev_i32_e32 v3, 31, v3
	v_xor_b32_e32 v6, vcc_hi, v3
	v_xor_b32_e32 v3, vcc_lo, v3
	v_and_b32_e32 v1, v1, v6
	v_lshlrev_b32_e32 v6, 28, v0
	v_and_b32_e32 v2, v2, v3
	v_cmp_gt_i64_e32 vcc, 0, v[5:6]
	v_not_b32_e32 v3, v6
	v_ashrrev_i32_e32 v3, 31, v3
	v_xor_b32_e32 v6, vcc_hi, v3
	;; [unrolled: 8-line block ×5, first 2 shown]
	v_and_b32_e32 v1, v1, v6
	v_lshlrev_b32_e32 v6, 24, v0
	v_xor_b32_e32 v3, vcc_lo, v3
	v_cmp_gt_i64_e32 vcc, 0, v[5:6]
	v_not_b32_e32 v0, v6
	v_ashrrev_i32_e32 v0, 31, v0
	v_and_b32_e32 v2, v2, v3
	v_xor_b32_e32 v3, vcc_hi, v0
	v_xor_b32_e32 v0, vcc_lo, v0
	; wave barrier
	ds_read_b32 v38, v39 offset:16
	v_and_b32_e32 v0, v2, v0
	v_and_b32_e32 v1, v1, v3
	v_mbcnt_lo_u32_b32 v2, v0, 0
	v_mbcnt_hi_u32_b32 v6, v1, v2
	v_cmp_ne_u64_e32 vcc, 0, v[0:1]
	v_cmp_eq_u32_e64 s[30:31], 0, v6
	s_and_b64 s[36:37], vcc, s[30:31]
	; wave barrier
	s_and_saveexec_b64 s[30:31], s[36:37]
	s_cbranch_execz .LBB32_12
; %bb.11:                               ;   in Loop: Header=BB32_6 Depth=2
	v_bcnt_u32_b32 v0, v0, 0
	v_bcnt_u32_b32 v0, v1, v0
	s_waitcnt lgkmcnt(0)
	v_add_u32_e32 v0, v38, v0
	ds_write_b32 v39, v0 offset:16
.LBB32_12:                              ;   in Loop: Header=BB32_6 Depth=2
	s_or_b64 exec, exec, s[30:31]
	; wave barrier
	s_waitcnt lgkmcnt(0)
	s_barrier
	ds_read2_b64 v[0:3], v11 offset0:2 offset1:3
	s_waitcnt lgkmcnt(0)
	v_add_u32_e32 v40, v1, v0
	v_add3_u32 v3, v40, v2, v3
	s_nop 1
	v_mov_b32_dpp v40, v3 row_shr:1 row_mask:0xf bank_mask:0xf
	v_cndmask_b32_e64 v40, v40, 0, s[2:3]
	v_add_u32_e32 v3, v40, v3
	s_nop 1
	v_mov_b32_dpp v40, v3 row_shr:2 row_mask:0xf bank_mask:0xf
	v_cndmask_b32_e64 v40, 0, v40, s[4:5]
	v_add_u32_e32 v3, v3, v40
	;; [unrolled: 4-line block ×4, first 2 shown]
	s_nop 1
	v_mov_b32_dpp v40, v3 row_bcast:15 row_mask:0xf bank_mask:0xf
	v_cndmask_b32_e64 v40, v40, 0, s[10:11]
	v_add_u32_e32 v3, v3, v40
	s_nop 1
	v_mov_b32_dpp v40, v3 row_bcast:31 row_mask:0xf bank_mask:0xf
	v_cndmask_b32_e64 v40, 0, v40, s[28:29]
	v_add_u32_e32 v3, v3, v40
	s_and_saveexec_b64 s[30:31], s[12:13]
; %bb.13:                               ;   in Loop: Header=BB32_6 Depth=2
	ds_write_b32 v21, v3
; %bb.14:                               ;   in Loop: Header=BB32_6 Depth=2
	s_or_b64 exec, exec, s[30:31]
	s_waitcnt lgkmcnt(0)
	s_barrier
	s_and_saveexec_b64 s[30:31], s[14:15]
	s_cbranch_execz .LBB32_16
; %bb.15:                               ;   in Loop: Header=BB32_6 Depth=2
	ds_read_b32 v40, v13
	s_waitcnt lgkmcnt(0)
	s_nop 0
	v_mov_b32_dpp v41, v40 row_shr:1 row_mask:0xf bank_mask:0xf
	v_cndmask_b32_e64 v41, v41, 0, s[24:25]
	v_add_u32_e32 v40, v41, v40
	s_nop 1
	v_mov_b32_dpp v41, v40 row_shr:2 row_mask:0xf bank_mask:0xf
	v_cndmask_b32_e64 v41, 0, v41, s[26:27]
	v_add_u32_e32 v40, v40, v41
	ds_write_b32 v13, v40
.LBB32_16:                              ;   in Loop: Header=BB32_6 Depth=2
	s_or_b64 exec, exec, s[30:31]
	v_mov_b32_e32 v40, 0
	s_waitcnt lgkmcnt(0)
	s_barrier
	s_and_saveexec_b64 s[30:31], s[16:17]
; %bb.17:                               ;   in Loop: Header=BB32_6 Depth=2
	ds_read_b32 v40, v25
; %bb.18:                               ;   in Loop: Header=BB32_6 Depth=2
	s_or_b64 exec, exec, s[30:31]
	s_waitcnt lgkmcnt(0)
	v_add_u32_e32 v3, v40, v3
	ds_bpermute_b32 v3, v20, v3
	v_cmp_lt_u32_e32 vcc, 23, v31
	s_and_b64 vcc, exec, vcc
	s_mov_b64 s[30:31], -1
	s_waitcnt lgkmcnt(0)
	v_cndmask_b32_e64 v3, v3, v40, s[18:19]
	v_cndmask_b32_e64 v40, v3, 0, s[20:21]
	v_add_u32_e32 v41, v40, v0
	v_add_u32_e32 v0, v41, v1
	;; [unrolled: 1-line block ×3, first 2 shown]
	ds_write2_b64 v11, v[40:41], v[0:1] offset0:2 offset1:3
	s_waitcnt lgkmcnt(0)
	s_barrier
	ds_read_b32 v0, v34 offset:16
	ds_read_b32 v1, v36 offset:16
	ds_read_b32 v2, v39 offset:16
	s_waitcnt lgkmcnt(2)
	v_add_u32_e32 v33, v0, v33
	s_waitcnt lgkmcnt(1)
	v_add3_u32 v3, v37, v35, v1
	s_waitcnt lgkmcnt(0)
	v_add3_u32 v2, v6, v38, v2
                                        ; implicit-def: $vgpr6
                                        ; implicit-def: $vgpr1
	s_cbranch_vccnz .LBB32_5
; %bb.19:                               ;   in Loop: Header=BB32_6 Depth=2
	v_lshlrev_b32_e32 v0, 2, v33
	s_barrier
	ds_write_b32 v0, v32
	v_lshlrev_b32_e32 v0, 2, v3
	ds_write_b32 v0, v30
	v_lshlrev_b32_e32 v0, 2, v2
	ds_write_b32 v0, v29
	s_waitcnt lgkmcnt(0)
	s_barrier
	ds_read2st64_b32 v[0:1], v19 offset1:1
	ds_read_b32 v6, v19 offset:512
	v_add_u32_e32 v31, 8, v31
	s_mov_b64 s[30:31], 0
	s_waitcnt lgkmcnt(0)
	s_barrier
	s_branch .LBB32_5
.LBB32_20:                              ;   in Loop: Header=BB32_2 Depth=1
	v_lshlrev_b32_e32 v0, 2, v33
	s_barrier
	ds_write_b32 v0, v32
	v_lshlrev_b32_e32 v0, 2, v3
	ds_write_b32 v0, v30
	v_lshlrev_b32_e32 v0, 2, v2
	ds_write_b32 v0, v29
	s_waitcnt lgkmcnt(0)
	s_barrier
	ds_read2_b32 v[0:1], v22 offset1:1
	ds_read_b32 v2, v22 offset:8
	s_waitcnt lgkmcnt(0)
	s_barrier
	s_and_saveexec_b64 s[30:31], s[0:1]
; %bb.21:                               ;   in Loop: Header=BB32_2 Depth=1
	ds_write2st64_b32 v24, v27, v27 offset0:8 offset1:12
; %bb.22:                               ;   in Loop: Header=BB32_2 Depth=1
	s_or_b64 exec, exec, s[30:31]
	v_xor_b32_e32 v6, 0x80000000, v2
	v_xor_b32_e32 v3, 0x80000000, v1
	v_cmp_ne_u32_e32 vcc, v1, v2
	v_mov_b32_e32 v1, v6
	s_waitcnt lgkmcnt(0)
	s_barrier
	ds_write_b32 v13, v6
	s_and_saveexec_b64 s[30:31], vcc
	s_cbranch_execz .LBB32_24
; %bb.23:                               ;   in Loop: Header=BB32_2 Depth=1
	v_lshlrev_b32_e32 v1, 2, v6
	v_lshlrev_b32_e32 v2, 2, v3
	ds_write_b32 v1, v15 offset:2048
	ds_write_b32 v2, v15 offset:3072
	v_mov_b32_e32 v1, v3
.LBB32_24:                              ;   in Loop: Header=BB32_2 Depth=1
	s_or_b64 exec, exec, s[30:31]
	v_xor_b32_e32 v29, 0x80000000, v0
	v_cmp_ne_u32_e32 vcc, v29, v1
	v_lshlrev_b32_e32 v0, 2, v29
	s_and_saveexec_b64 s[30:31], vcc
	s_cbranch_execz .LBB32_26
; %bb.25:                               ;   in Loop: Header=BB32_2 Depth=1
	v_lshlrev_b32_e32 v1, 2, v1
	ds_write_b32 v1, v16 offset:2048
	ds_write_b32 v0, v16 offset:3072
.LBB32_26:                              ;   in Loop: Header=BB32_2 Depth=1
	s_or_b64 exec, exec, s[30:31]
	s_waitcnt lgkmcnt(0)
	s_barrier
	s_and_saveexec_b64 s[30:31], s[22:23]
	s_cbranch_execz .LBB32_29
; %bb.27:                               ;   in Loop: Header=BB32_2 Depth=1
	ds_read_b32 v1, v26
	s_waitcnt lgkmcnt(0)
	v_cmp_ne_u32_e32 vcc, v1, v29
	s_and_b64 exec, exec, vcc
	s_cbranch_execz .LBB32_29
; %bb.28:                               ;   in Loop: Header=BB32_2 Depth=1
	ds_write_b32 v0, v14 offset:2048
	ds_read_b32 v1, v26
	s_waitcnt lgkmcnt(0)
	v_lshlrev_b32_e32 v1, 2, v1
	ds_write_b32 v1, v14 offset:3072
.LBB32_29:                              ;   in Loop: Header=BB32_2 Depth=1
	s_or_b64 exec, exec, s[30:31]
	s_waitcnt lgkmcnt(0)
	s_barrier
	s_and_saveexec_b64 s[30:31], s[20:21]
; %bb.30:                               ;   in Loop: Header=BB32_2 Depth=1
	ds_write_b32 v0, v5 offset:2048
; %bb.31:                               ;   in Loop: Header=BB32_2 Depth=1
	s_or_b64 exec, exec, s[30:31]
	s_waitcnt lgkmcnt(0)
	s_barrier
	s_and_saveexec_b64 s[30:31], s[0:1]
	s_cbranch_execz .LBB32_1
; %bb.32:                               ;   in Loop: Header=BB32_2 Depth=1
	ds_read2st64_b32 v[0:1], v24 offset0:8 offset1:12
	ds_read_b32 v2, v12
	s_waitcnt lgkmcnt(1)
	v_sub_u32_e32 v0, v1, v0
	s_waitcnt lgkmcnt(0)
	v_add_u32_e32 v0, v0, v2
	ds_write_b32 v12, v0
	s_branch .LBB32_1
.LBB32_33:
	s_and_saveexec_b64 s[2:3], s[0:1]
	s_cbranch_execz .LBB32_35
; %bb.34:
	v_mov_b32_e32 v5, 0
	ds_read_b32 v3, v12
	v_lshlrev_b64 v[0:1], 2, v[4:5]
	v_mov_b32_e32 v2, s39
	v_add_co_u32_e32 v0, vcc, s38, v0
	v_addc_co_u32_e32 v1, vcc, v2, v1, vcc
	s_waitcnt lgkmcnt(0)
	global_store_dword v[0:1], v3, off
.LBB32_35:
	s_endpgm
	.section	.rodata,"a",@progbits
	.p2align	6, 0x0
	.amdhsa_kernel _Z6kernelI9histogramILN6hipcub23BlockHistogramAlgorithmE1EEiLj256ELj3ELj256ELj100EEvPKT0_PS4_
		.amdhsa_group_segment_fixed_size 5136
		.amdhsa_private_segment_fixed_size 0
		.amdhsa_kernarg_size 272
		.amdhsa_user_sgpr_count 6
		.amdhsa_user_sgpr_private_segment_buffer 1
		.amdhsa_user_sgpr_dispatch_ptr 0
		.amdhsa_user_sgpr_queue_ptr 0
		.amdhsa_user_sgpr_kernarg_segment_ptr 1
		.amdhsa_user_sgpr_dispatch_id 0
		.amdhsa_user_sgpr_flat_scratch_init 0
		.amdhsa_user_sgpr_private_segment_size 0
		.amdhsa_uses_dynamic_stack 0
		.amdhsa_system_sgpr_private_segment_wavefront_offset 0
		.amdhsa_system_sgpr_workgroup_id_x 1
		.amdhsa_system_sgpr_workgroup_id_y 0
		.amdhsa_system_sgpr_workgroup_id_z 0
		.amdhsa_system_sgpr_workgroup_info 0
		.amdhsa_system_vgpr_workitem_id 2
		.amdhsa_next_free_vgpr 42
		.amdhsa_next_free_sgpr 40
		.amdhsa_reserve_vcc 1
		.amdhsa_reserve_flat_scratch 0
		.amdhsa_float_round_mode_32 0
		.amdhsa_float_round_mode_16_64 0
		.amdhsa_float_denorm_mode_32 3
		.amdhsa_float_denorm_mode_16_64 3
		.amdhsa_dx10_clamp 1
		.amdhsa_ieee_mode 1
		.amdhsa_fp16_overflow 0
		.amdhsa_exception_fp_ieee_invalid_op 0
		.amdhsa_exception_fp_denorm_src 0
		.amdhsa_exception_fp_ieee_div_zero 0
		.amdhsa_exception_fp_ieee_overflow 0
		.amdhsa_exception_fp_ieee_underflow 0
		.amdhsa_exception_fp_ieee_inexact 0
		.amdhsa_exception_int_div_zero 0
	.end_amdhsa_kernel
	.section	.text._Z6kernelI9histogramILN6hipcub23BlockHistogramAlgorithmE1EEiLj256ELj3ELj256ELj100EEvPKT0_PS4_,"axG",@progbits,_Z6kernelI9histogramILN6hipcub23BlockHistogramAlgorithmE1EEiLj256ELj3ELj256ELj100EEvPKT0_PS4_,comdat
.Lfunc_end32:
	.size	_Z6kernelI9histogramILN6hipcub23BlockHistogramAlgorithmE1EEiLj256ELj3ELj256ELj100EEvPKT0_PS4_, .Lfunc_end32-_Z6kernelI9histogramILN6hipcub23BlockHistogramAlgorithmE1EEiLj256ELj3ELj256ELj100EEvPKT0_PS4_
                                        ; -- End function
	.set _Z6kernelI9histogramILN6hipcub23BlockHistogramAlgorithmE1EEiLj256ELj3ELj256ELj100EEvPKT0_PS4_.num_vgpr, 42
	.set _Z6kernelI9histogramILN6hipcub23BlockHistogramAlgorithmE1EEiLj256ELj3ELj256ELj100EEvPKT0_PS4_.num_agpr, 0
	.set _Z6kernelI9histogramILN6hipcub23BlockHistogramAlgorithmE1EEiLj256ELj3ELj256ELj100EEvPKT0_PS4_.numbered_sgpr, 40
	.set _Z6kernelI9histogramILN6hipcub23BlockHistogramAlgorithmE1EEiLj256ELj3ELj256ELj100EEvPKT0_PS4_.num_named_barrier, 0
	.set _Z6kernelI9histogramILN6hipcub23BlockHistogramAlgorithmE1EEiLj256ELj3ELj256ELj100EEvPKT0_PS4_.private_seg_size, 0
	.set _Z6kernelI9histogramILN6hipcub23BlockHistogramAlgorithmE1EEiLj256ELj3ELj256ELj100EEvPKT0_PS4_.uses_vcc, 1
	.set _Z6kernelI9histogramILN6hipcub23BlockHistogramAlgorithmE1EEiLj256ELj3ELj256ELj100EEvPKT0_PS4_.uses_flat_scratch, 0
	.set _Z6kernelI9histogramILN6hipcub23BlockHistogramAlgorithmE1EEiLj256ELj3ELj256ELj100EEvPKT0_PS4_.has_dyn_sized_stack, 0
	.set _Z6kernelI9histogramILN6hipcub23BlockHistogramAlgorithmE1EEiLj256ELj3ELj256ELj100EEvPKT0_PS4_.has_recursion, 0
	.set _Z6kernelI9histogramILN6hipcub23BlockHistogramAlgorithmE1EEiLj256ELj3ELj256ELj100EEvPKT0_PS4_.has_indirect_call, 0
	.section	.AMDGPU.csdata,"",@progbits
; Kernel info:
; codeLenInByte = 2700
; TotalNumSgprs: 44
; NumVgprs: 42
; ScratchSize: 0
; MemoryBound: 0
; FloatMode: 240
; IeeeMode: 1
; LDSByteSize: 5136 bytes/workgroup (compile time only)
; SGPRBlocks: 5
; VGPRBlocks: 10
; NumSGPRsForWavesPerEU: 44
; NumVGPRsForWavesPerEU: 42
; Occupancy: 5
; WaveLimiterHint : 0
; COMPUTE_PGM_RSRC2:SCRATCH_EN: 0
; COMPUTE_PGM_RSRC2:USER_SGPR: 6
; COMPUTE_PGM_RSRC2:TRAP_HANDLER: 0
; COMPUTE_PGM_RSRC2:TGID_X_EN: 1
; COMPUTE_PGM_RSRC2:TGID_Y_EN: 0
; COMPUTE_PGM_RSRC2:TGID_Z_EN: 0
; COMPUTE_PGM_RSRC2:TIDIG_COMP_CNT: 2
	.section	.text._Z6kernelI9histogramILN6hipcub23BlockHistogramAlgorithmE1EEiLj256ELj4ELj256ELj100EEvPKT0_PS4_,"axG",@progbits,_Z6kernelI9histogramILN6hipcub23BlockHistogramAlgorithmE1EEiLj256ELj4ELj256ELj100EEvPKT0_PS4_,comdat
	.protected	_Z6kernelI9histogramILN6hipcub23BlockHistogramAlgorithmE1EEiLj256ELj4ELj256ELj100EEvPKT0_PS4_ ; -- Begin function _Z6kernelI9histogramILN6hipcub23BlockHistogramAlgorithmE1EEiLj256ELj4ELj256ELj100EEvPKT0_PS4_
	.globl	_Z6kernelI9histogramILN6hipcub23BlockHistogramAlgorithmE1EEiLj256ELj4ELj256ELj100EEvPKT0_PS4_
	.p2align	8
	.type	_Z6kernelI9histogramILN6hipcub23BlockHistogramAlgorithmE1EEiLj256ELj4ELj256ELj100EEvPKT0_PS4_,@function
_Z6kernelI9histogramILN6hipcub23BlockHistogramAlgorithmE1EEiLj256ELj4ELj256ELj100EEvPKT0_PS4_: ; @_Z6kernelI9histogramILN6hipcub23BlockHistogramAlgorithmE1EEiLj256ELj4ELj256ELj100EEvPKT0_PS4_
; %bb.0:
	s_load_dwordx4 s[40:43], s[4:5], 0x0
	s_load_dword s7, s[4:5], 0x1c
	v_lshlrev_b32_e32 v13, 2, v0
	v_mov_b32_e32 v7, 0
	v_lshl_or_b32 v3, s6, 10, v13
	v_mov_b32_e32 v4, v7
	v_lshlrev_b64 v[3:4], 2, v[3:4]
	s_waitcnt lgkmcnt(0)
	v_mov_b32_e32 v5, s41
	v_add_co_u32_e32 v3, vcc, s40, v3
	v_addc_co_u32_e32 v4, vcc, v5, v4, vcc
	global_load_dwordx4 v[3:6], v[3:4], off
	s_lshr_b32 s10, s7, 16
	v_mbcnt_lo_u32_b32 v8, -1, 0
	s_and_b32 s7, s7, 0xffff
	v_mad_u32_u24 v1, v2, s10, v1
	v_mbcnt_hi_u32_b32 v8, -1, v8
	v_mad_u64_u32 v[1:2], s[10:11], v1, s7, v[0:1]
	v_and_b32_e32 v2, 15, v8
	v_cmp_eq_u32_e64 s[10:11], 0, v2
	v_cmp_lt_u32_e64 s[12:13], 1, v2
	v_cmp_lt_u32_e64 s[14:15], 3, v2
	;; [unrolled: 1-line block ×3, first 2 shown]
	v_and_b32_e32 v2, 16, v8
	v_cmp_eq_u32_e64 s[18:19], 0, v2
	v_or_b32_e32 v2, 63, v0
	v_lshrrev_b32_e32 v9, 2, v8
	v_and_b32_e32 v11, 64, v8
	v_cmp_eq_u32_e64 s[22:23], v0, v2
	v_subrev_co_u32_e64 v2, s[28:29], 1, v8
	v_or_b32_e32 v12, v9, v11
	v_add_u32_e32 v9, 48, v9
	v_cmp_lt_i32_e32 vcc, v2, v11
	s_mov_b32 s44, 0
	v_and_or_b32 v9, v9, 63, v11
	v_lshlrev_b32_e32 v18, 4, v0
	v_cndmask_b32_e32 v2, v2, v8, vcc
	v_and_b32_e32 v10, 3, v8
	v_lshlrev_b32_e32 v17, 2, v9
	v_lshlrev_b32_e32 v19, 2, v2
	v_lshrrev_b32_e32 v2, 4, v0
	v_mad_i32_i24 v22, v0, -12, v18
	v_and_b32_e32 v9, 0xc00, v18
	s_mov_b32 s40, s44
	s_movk_i32 s0, 0x100
	v_cmp_eq_u32_e64 s[2:3], 3, v10
	v_cmp_eq_u32_e64 s[4:5], 2, v10
	;; [unrolled: 1-line block ×4, first 2 shown]
	v_lshlrev_b32_e32 v14, 2, v12
	v_and_b32_e32 v21, 12, v2
	v_mul_i32_i24_e32 v2, -12, v0
	v_cmp_lt_u32_e64 s[36:37], 1, v10
	v_lshl_or_b32 v23, v8, 2, v9
	v_lshrrev_b32_e32 v1, 4, v1
	v_mad_u32_u24 v24, v0, 12, v22
	s_mov_b32 s45, s44
	s_mov_b32 s41, s44
	v_mov_b32_e32 v9, s44
	v_mov_b32_e32 v11, s40
	v_cmp_gt_u32_e64 s[0:1], s0, v0
	v_add_u32_e32 v15, 64, v14
	v_or_b32_e32 v16, 0x80, v14
	v_cmp_lt_u32_e64 s[20:21], 31, v8
	v_cmp_gt_u32_e64 s[24:25], 4, v0
	v_cmp_lt_u32_e64 s[26:27], 63, v0
	v_cmp_eq_u32_e64 s[30:31], 0, v0
	v_cmp_ne_u32_e64 s[34:35], 0, v0
	v_and_b32_e32 v25, 0xffffffc, v1
	v_add_u32_e32 v26, v24, v2
	v_add_u32_e32 v20, 0x1010, v13
	v_or_b32_e32 v27, 3, v13
	v_or_b32_e32 v28, 2, v13
	v_or_b32_e32 v29, 1, v13
	v_add_u32_e32 v30, -4, v22
	v_mov_b32_e32 v31, 4
	v_mov_b32_e32 v10, s45
	;; [unrolled: 1-line block ×3, first 2 shown]
	s_branch .LBB33_2
.LBB33_1:                               ;   in Loop: Header=BB33_2 Depth=1
	s_or_b64 exec, exec, s[40:41]
	s_add_i32 s44, s44, 1
	s_cmpk_eq_i32 s44, 0x64
	s_cbranch_scc1 .LBB33_37
.LBB33_2:                               ; =>This Loop Header: Depth=1
                                        ;     Child Loop BB33_6 Depth 2
	s_and_saveexec_b64 s[40:41], s[0:1]
; %bb.3:                                ;   in Loop: Header=BB33_2 Depth=1
	ds_write_b32 v20, v7
; %bb.4:                                ;   in Loop: Header=BB33_2 Depth=1
	s_or_b64 exec, exec, s[40:41]
	s_waitcnt vmcnt(0)
	v_xor_b32_e32 v3, 0x80000000, v3
	ds_bpermute_b32 v1, v14, v3
	v_xor_b32_e32 v4, 0x80000000, v4
	v_xor_b32_e32 v5, 0x80000000, v5
	ds_bpermute_b32 v2, v14, v4
	v_xor_b32_e32 v6, 0x80000000, v6
	ds_bpermute_b32 v8, v14, v5
	ds_bpermute_b32 v32, v14, v6
	;; [unrolled: 1-line block ×3, first 2 shown]
	s_waitcnt lgkmcnt(4)
	v_cndmask_b32_e64 v1, 0, v1, s[8:9]
	ds_bpermute_b32 v34, v15, v4
	s_waitcnt lgkmcnt(4)
	v_cndmask_b32_e64 v1, v1, v2, s[38:39]
	s_waitcnt lgkmcnt(3)
	v_cndmask_b32_e64 v1, v1, v8, s[4:5]
	ds_bpermute_b32 v8, v15, v5
	s_waitcnt lgkmcnt(3)
	v_cndmask_b32_e64 v1, v1, v32, s[2:3]
	s_waitcnt lgkmcnt(2)
	v_cndmask_b32_e64 v2, 0, v33, s[8:9]
	ds_bpermute_b32 v32, v15, v6
	ds_bpermute_b32 v33, v16, v3
	s_waitcnt lgkmcnt(3)
	v_cndmask_b32_e64 v2, v2, v34, s[38:39]
	ds_bpermute_b32 v34, v16, v4
	ds_bpermute_b32 v35, v16, v5
	s_waitcnt lgkmcnt(4)
	v_cndmask_b32_e64 v2, v2, v8, s[4:5]
	s_waitcnt lgkmcnt(3)
	v_cndmask_b32_e64 v2, v2, v32, s[2:3]
	;; [unrolled: 2-line block ×3, first 2 shown]
	ds_bpermute_b32 v32, v16, v6
	ds_bpermute_b32 v33, v17, v3
	;; [unrolled: 1-line block ×4, first 2 shown]
	s_waitcnt lgkmcnt(5)
	v_cndmask_b32_e64 v8, v8, v34, s[38:39]
	ds_bpermute_b32 v6, v17, v6
	s_waitcnt lgkmcnt(5)
	v_cndmask_b32_e64 v8, v8, v35, s[4:5]
	s_waitcnt lgkmcnt(4)
	v_cndmask_b32_e64 v3, v8, v32, s[2:3]
	;; [unrolled: 2-line block ×6, first 2 shown]
	v_mov_b32_e32 v32, 0
	s_barrier
	s_barrier
	s_branch .LBB33_6
.LBB33_5:                               ;   in Loop: Header=BB33_6 Depth=2
	s_andn2_b64 vcc, exec, s[40:41]
	s_cbranch_vccz .LBB33_22
.LBB33_6:                               ;   Parent Loop BB33_2 Depth=1
                                        ; =>  This Inner Loop Header: Depth=2
	v_mov_b32_e32 v34, v1
	v_lshrrev_b32_e32 v1, v32, v34
	v_mov_b32_e32 v33, v2
	v_and_b32_e32 v2, 1, v1
	v_mov_b32_e32 v5, v4
	v_add_co_u32_e32 v4, vcc, -1, v2
	v_addc_co_u32_e64 v8, s[40:41], 0, -1, vcc
	v_cmp_ne_u32_e32 vcc, 0, v2
	v_xor_b32_e32 v2, vcc_hi, v8
	v_lshlrev_b32_e32 v8, 30, v1
	v_xor_b32_e32 v4, vcc_lo, v4
	v_cmp_gt_i64_e32 vcc, 0, v[7:8]
	v_not_b32_e32 v8, v8
	v_ashrrev_i32_e32 v8, 31, v8
	v_and_b32_e32 v4, exec_lo, v4
	v_xor_b32_e32 v35, vcc_hi, v8
	v_xor_b32_e32 v8, vcc_lo, v8
	v_and_b32_e32 v4, v4, v8
	v_lshlrev_b32_e32 v8, 29, v1
	v_cmp_gt_i64_e32 vcc, 0, v[7:8]
	v_not_b32_e32 v8, v8
	v_and_b32_e32 v2, exec_hi, v2
	v_ashrrev_i32_e32 v8, 31, v8
	v_and_b32_e32 v2, v2, v35
	v_xor_b32_e32 v35, vcc_hi, v8
	v_xor_b32_e32 v8, vcc_lo, v8
	v_and_b32_e32 v4, v4, v8
	v_lshlrev_b32_e32 v8, 28, v1
	v_cmp_gt_i64_e32 vcc, 0, v[7:8]
	v_not_b32_e32 v8, v8
	v_ashrrev_i32_e32 v8, 31, v8
	v_and_b32_e32 v2, v2, v35
	v_xor_b32_e32 v35, vcc_hi, v8
	v_xor_b32_e32 v8, vcc_lo, v8
	v_and_b32_e32 v4, v4, v8
	v_lshlrev_b32_e32 v8, 27, v1
	v_cmp_gt_i64_e32 vcc, 0, v[7:8]
	v_not_b32_e32 v8, v8
	;; [unrolled: 8-line block ×4, first 2 shown]
	v_ashrrev_i32_e32 v8, 31, v8
	v_and_b32_e32 v2, v2, v35
	v_xor_b32_e32 v35, vcc_hi, v8
	v_xor_b32_e32 v8, vcc_lo, v8
	v_and_b32_e32 v4, v4, v8
	v_lshlrev_b32_e32 v8, 24, v1
	v_mov_b32_e32 v6, v3
	v_lshlrev_b32_sdwa v3, v31, v1 dst_sel:DWORD dst_unused:UNUSED_PAD src0_sel:DWORD src1_sel:BYTE_0
	v_cmp_gt_i64_e32 vcc, 0, v[7:8]
	v_not_b32_e32 v1, v8
	v_ashrrev_i32_e32 v1, 31, v1
	v_xor_b32_e32 v8, vcc_hi, v1
	v_xor_b32_e32 v1, vcc_lo, v1
	v_and_b32_e32 v2, v2, v35
	v_and_b32_e32 v1, v4, v1
	;; [unrolled: 1-line block ×3, first 2 shown]
	v_mbcnt_lo_u32_b32 v4, v1, 0
	v_mbcnt_hi_u32_b32 v35, v2, v4
	v_cmp_ne_u64_e32 vcc, 0, v[1:2]
	v_cmp_eq_u32_e64 s[40:41], 0, v35
	s_and_b64 s[46:47], vcc, s[40:41]
	v_add_u32_e32 v36, v25, v3
	ds_write2_b64 v18, v[9:10], v[11:12] offset0:2 offset1:3
	s_waitcnt lgkmcnt(0)
	s_barrier
	; wave barrier
	s_and_saveexec_b64 s[40:41], s[46:47]
; %bb.7:                                ;   in Loop: Header=BB33_6 Depth=2
	v_bcnt_u32_b32 v1, v1, 0
	v_bcnt_u32_b32 v1, v2, v1
	ds_write_b32 v36, v1 offset:16
; %bb.8:                                ;   in Loop: Header=BB33_6 Depth=2
	s_or_b64 exec, exec, s[40:41]
	v_lshrrev_b32_e32 v1, v32, v33
	v_lshlrev_b32_sdwa v2, v31, v1 dst_sel:DWORD dst_unused:UNUSED_PAD src0_sel:DWORD src1_sel:BYTE_0
	v_add_u32_e32 v38, v25, v2
	v_and_b32_e32 v2, 1, v1
	v_add_co_u32_e32 v3, vcc, -1, v2
	v_addc_co_u32_e64 v4, s[40:41], 0, -1, vcc
	v_cmp_ne_u32_e32 vcc, 0, v2
	v_lshlrev_b32_e32 v8, 30, v1
	v_xor_b32_e32 v2, vcc_hi, v4
	v_xor_b32_e32 v3, vcc_lo, v3
	v_cmp_gt_i64_e32 vcc, 0, v[7:8]
	v_not_b32_e32 v4, v8
	v_ashrrev_i32_e32 v4, 31, v4
	v_and_b32_e32 v2, exec_hi, v2
	v_xor_b32_e32 v8, vcc_hi, v4
	v_and_b32_e32 v3, exec_lo, v3
	v_xor_b32_e32 v4, vcc_lo, v4
	v_and_b32_e32 v2, v2, v8
	v_lshlrev_b32_e32 v8, 29, v1
	v_and_b32_e32 v3, v3, v4
	v_cmp_gt_i64_e32 vcc, 0, v[7:8]
	v_not_b32_e32 v4, v8
	v_ashrrev_i32_e32 v4, 31, v4
	v_xor_b32_e32 v8, vcc_hi, v4
	v_xor_b32_e32 v4, vcc_lo, v4
	v_and_b32_e32 v2, v2, v8
	v_lshlrev_b32_e32 v8, 28, v1
	v_and_b32_e32 v3, v3, v4
	v_cmp_gt_i64_e32 vcc, 0, v[7:8]
	v_not_b32_e32 v4, v8
	v_ashrrev_i32_e32 v4, 31, v4
	v_xor_b32_e32 v8, vcc_hi, v4
	;; [unrolled: 8-line block ×5, first 2 shown]
	v_and_b32_e32 v2, v2, v8
	v_lshlrev_b32_e32 v8, 24, v1
	v_xor_b32_e32 v4, vcc_lo, v4
	v_cmp_gt_i64_e32 vcc, 0, v[7:8]
	v_not_b32_e32 v1, v8
	v_ashrrev_i32_e32 v1, 31, v1
	v_and_b32_e32 v3, v3, v4
	v_xor_b32_e32 v4, vcc_hi, v1
	v_xor_b32_e32 v1, vcc_lo, v1
	; wave barrier
	ds_read_b32 v37, v38 offset:16
	v_and_b32_e32 v1, v3, v1
	v_and_b32_e32 v2, v2, v4
	v_mbcnt_lo_u32_b32 v3, v1, 0
	v_mbcnt_hi_u32_b32 v39, v2, v3
	v_cmp_ne_u64_e32 vcc, 0, v[1:2]
	v_cmp_eq_u32_e64 s[40:41], 0, v39
	s_and_b64 s[46:47], vcc, s[40:41]
	; wave barrier
	s_and_saveexec_b64 s[40:41], s[46:47]
	s_cbranch_execz .LBB33_10
; %bb.9:                                ;   in Loop: Header=BB33_6 Depth=2
	v_bcnt_u32_b32 v1, v1, 0
	v_bcnt_u32_b32 v1, v2, v1
	s_waitcnt lgkmcnt(0)
	v_add_u32_e32 v1, v37, v1
	ds_write_b32 v38, v1 offset:16
.LBB33_10:                              ;   in Loop: Header=BB33_6 Depth=2
	s_or_b64 exec, exec, s[40:41]
	v_lshrrev_b32_e32 v1, v32, v6
	v_lshlrev_b32_sdwa v2, v31, v1 dst_sel:DWORD dst_unused:UNUSED_PAD src0_sel:DWORD src1_sel:BYTE_0
	v_add_u32_e32 v41, v25, v2
	v_and_b32_e32 v2, 1, v1
	v_add_co_u32_e32 v3, vcc, -1, v2
	v_addc_co_u32_e64 v4, s[40:41], 0, -1, vcc
	v_cmp_ne_u32_e32 vcc, 0, v2
	v_lshlrev_b32_e32 v8, 30, v1
	v_xor_b32_e32 v2, vcc_hi, v4
	v_xor_b32_e32 v3, vcc_lo, v3
	v_cmp_gt_i64_e32 vcc, 0, v[7:8]
	v_not_b32_e32 v4, v8
	v_ashrrev_i32_e32 v4, 31, v4
	v_and_b32_e32 v2, exec_hi, v2
	v_xor_b32_e32 v8, vcc_hi, v4
	v_and_b32_e32 v3, exec_lo, v3
	v_xor_b32_e32 v4, vcc_lo, v4
	v_and_b32_e32 v2, v2, v8
	v_lshlrev_b32_e32 v8, 29, v1
	v_and_b32_e32 v3, v3, v4
	v_cmp_gt_i64_e32 vcc, 0, v[7:8]
	v_not_b32_e32 v4, v8
	v_ashrrev_i32_e32 v4, 31, v4
	v_xor_b32_e32 v8, vcc_hi, v4
	v_xor_b32_e32 v4, vcc_lo, v4
	v_and_b32_e32 v2, v2, v8
	v_lshlrev_b32_e32 v8, 28, v1
	v_and_b32_e32 v3, v3, v4
	v_cmp_gt_i64_e32 vcc, 0, v[7:8]
	v_not_b32_e32 v4, v8
	v_ashrrev_i32_e32 v4, 31, v4
	v_xor_b32_e32 v8, vcc_hi, v4
	v_xor_b32_e32 v4, vcc_lo, v4
	v_and_b32_e32 v2, v2, v8
	v_lshlrev_b32_e32 v8, 27, v1
	v_and_b32_e32 v3, v3, v4
	v_cmp_gt_i64_e32 vcc, 0, v[7:8]
	v_not_b32_e32 v4, v8
	v_ashrrev_i32_e32 v4, 31, v4
	v_xor_b32_e32 v8, vcc_hi, v4
	v_xor_b32_e32 v4, vcc_lo, v4
	v_and_b32_e32 v2, v2, v8
	v_lshlrev_b32_e32 v8, 26, v1
	v_and_b32_e32 v3, v3, v4
	v_cmp_gt_i64_e32 vcc, 0, v[7:8]
	v_not_b32_e32 v4, v8
	v_ashrrev_i32_e32 v4, 31, v4
	v_xor_b32_e32 v8, vcc_hi, v4
	v_xor_b32_e32 v4, vcc_lo, v4
	v_and_b32_e32 v2, v2, v8
	v_lshlrev_b32_e32 v8, 25, v1
	v_and_b32_e32 v3, v3, v4
	v_cmp_gt_i64_e32 vcc, 0, v[7:8]
	v_not_b32_e32 v4, v8
	v_ashrrev_i32_e32 v4, 31, v4
	v_xor_b32_e32 v8, vcc_hi, v4
	v_and_b32_e32 v2, v2, v8
	v_lshlrev_b32_e32 v8, 24, v1
	v_xor_b32_e32 v4, vcc_lo, v4
	v_cmp_gt_i64_e32 vcc, 0, v[7:8]
	v_not_b32_e32 v1, v8
	v_ashrrev_i32_e32 v1, 31, v1
	v_and_b32_e32 v3, v3, v4
	v_xor_b32_e32 v4, vcc_hi, v1
	v_xor_b32_e32 v1, vcc_lo, v1
	; wave barrier
	ds_read_b32 v40, v41 offset:16
	v_and_b32_e32 v1, v3, v1
	v_and_b32_e32 v2, v2, v4
	v_mbcnt_lo_u32_b32 v3, v1, 0
	v_mbcnt_hi_u32_b32 v42, v2, v3
	v_cmp_ne_u64_e32 vcc, 0, v[1:2]
	v_cmp_eq_u32_e64 s[40:41], 0, v42
	s_and_b64 s[46:47], vcc, s[40:41]
	; wave barrier
	s_and_saveexec_b64 s[40:41], s[46:47]
	s_cbranch_execz .LBB33_12
; %bb.11:                               ;   in Loop: Header=BB33_6 Depth=2
	v_bcnt_u32_b32 v1, v1, 0
	v_bcnt_u32_b32 v1, v2, v1
	s_waitcnt lgkmcnt(0)
	v_add_u32_e32 v1, v40, v1
	ds_write_b32 v41, v1 offset:16
.LBB33_12:                              ;   in Loop: Header=BB33_6 Depth=2
	s_or_b64 exec, exec, s[40:41]
	v_lshrrev_b32_e32 v1, v32, v5
	v_lshlrev_b32_sdwa v2, v31, v1 dst_sel:DWORD dst_unused:UNUSED_PAD src0_sel:DWORD src1_sel:BYTE_0
	v_add_u32_e32 v44, v25, v2
	v_and_b32_e32 v2, 1, v1
	v_add_co_u32_e32 v3, vcc, -1, v2
	v_addc_co_u32_e64 v4, s[40:41], 0, -1, vcc
	v_cmp_ne_u32_e32 vcc, 0, v2
	v_lshlrev_b32_e32 v8, 30, v1
	v_xor_b32_e32 v2, vcc_hi, v4
	v_xor_b32_e32 v3, vcc_lo, v3
	v_cmp_gt_i64_e32 vcc, 0, v[7:8]
	v_not_b32_e32 v4, v8
	v_ashrrev_i32_e32 v4, 31, v4
	v_and_b32_e32 v2, exec_hi, v2
	v_xor_b32_e32 v8, vcc_hi, v4
	v_and_b32_e32 v3, exec_lo, v3
	v_xor_b32_e32 v4, vcc_lo, v4
	v_and_b32_e32 v2, v2, v8
	v_lshlrev_b32_e32 v8, 29, v1
	v_and_b32_e32 v3, v3, v4
	v_cmp_gt_i64_e32 vcc, 0, v[7:8]
	v_not_b32_e32 v4, v8
	v_ashrrev_i32_e32 v4, 31, v4
	v_xor_b32_e32 v8, vcc_hi, v4
	v_xor_b32_e32 v4, vcc_lo, v4
	v_and_b32_e32 v2, v2, v8
	v_lshlrev_b32_e32 v8, 28, v1
	v_and_b32_e32 v3, v3, v4
	v_cmp_gt_i64_e32 vcc, 0, v[7:8]
	v_not_b32_e32 v4, v8
	v_ashrrev_i32_e32 v4, 31, v4
	v_xor_b32_e32 v8, vcc_hi, v4
	;; [unrolled: 8-line block ×5, first 2 shown]
	v_and_b32_e32 v2, v2, v8
	v_lshlrev_b32_e32 v8, 24, v1
	v_xor_b32_e32 v4, vcc_lo, v4
	v_cmp_gt_i64_e32 vcc, 0, v[7:8]
	v_not_b32_e32 v1, v8
	v_ashrrev_i32_e32 v1, 31, v1
	v_and_b32_e32 v3, v3, v4
	v_xor_b32_e32 v4, vcc_hi, v1
	v_xor_b32_e32 v1, vcc_lo, v1
	; wave barrier
	ds_read_b32 v43, v44 offset:16
	v_and_b32_e32 v1, v3, v1
	v_and_b32_e32 v2, v2, v4
	v_mbcnt_lo_u32_b32 v3, v1, 0
	v_mbcnt_hi_u32_b32 v8, v2, v3
	v_cmp_ne_u64_e32 vcc, 0, v[1:2]
	v_cmp_eq_u32_e64 s[40:41], 0, v8
	s_and_b64 s[46:47], vcc, s[40:41]
	; wave barrier
	s_and_saveexec_b64 s[40:41], s[46:47]
	s_cbranch_execz .LBB33_14
; %bb.13:                               ;   in Loop: Header=BB33_6 Depth=2
	v_bcnt_u32_b32 v1, v1, 0
	v_bcnt_u32_b32 v1, v2, v1
	s_waitcnt lgkmcnt(0)
	v_add_u32_e32 v1, v43, v1
	ds_write_b32 v44, v1 offset:16
.LBB33_14:                              ;   in Loop: Header=BB33_6 Depth=2
	s_or_b64 exec, exec, s[40:41]
	; wave barrier
	s_waitcnt lgkmcnt(0)
	s_barrier
	ds_read2_b64 v[1:4], v18 offset0:2 offset1:3
	s_waitcnt lgkmcnt(0)
	v_add_u32_e32 v45, v2, v1
	v_add3_u32 v4, v45, v3, v4
	s_nop 1
	v_mov_b32_dpp v45, v4 row_shr:1 row_mask:0xf bank_mask:0xf
	v_cndmask_b32_e64 v45, v45, 0, s[10:11]
	v_add_u32_e32 v4, v45, v4
	s_nop 1
	v_mov_b32_dpp v45, v4 row_shr:2 row_mask:0xf bank_mask:0xf
	v_cndmask_b32_e64 v45, 0, v45, s[12:13]
	v_add_u32_e32 v4, v4, v45
	;; [unrolled: 4-line block ×4, first 2 shown]
	s_nop 1
	v_mov_b32_dpp v45, v4 row_bcast:15 row_mask:0xf bank_mask:0xf
	v_cndmask_b32_e64 v45, v45, 0, s[18:19]
	v_add_u32_e32 v4, v4, v45
	s_nop 1
	v_mov_b32_dpp v45, v4 row_bcast:31 row_mask:0xf bank_mask:0xf
	v_cndmask_b32_e64 v45, 0, v45, s[20:21]
	v_add_u32_e32 v4, v4, v45
	s_and_saveexec_b64 s[40:41], s[22:23]
; %bb.15:                               ;   in Loop: Header=BB33_6 Depth=2
	ds_write_b32 v21, v4
; %bb.16:                               ;   in Loop: Header=BB33_6 Depth=2
	s_or_b64 exec, exec, s[40:41]
	s_waitcnt lgkmcnt(0)
	s_barrier
	s_and_saveexec_b64 s[40:41], s[24:25]
	s_cbranch_execz .LBB33_18
; %bb.17:                               ;   in Loop: Header=BB33_6 Depth=2
	ds_read_b32 v45, v22
	s_waitcnt lgkmcnt(0)
	s_nop 0
	v_mov_b32_dpp v46, v45 row_shr:1 row_mask:0xf bank_mask:0xf
	v_cndmask_b32_e64 v46, v46, 0, s[8:9]
	v_add_u32_e32 v45, v46, v45
	s_nop 1
	v_mov_b32_dpp v46, v45 row_shr:2 row_mask:0xf bank_mask:0xf
	v_cndmask_b32_e64 v46, 0, v46, s[36:37]
	v_add_u32_e32 v45, v45, v46
	ds_write_b32 v22, v45
.LBB33_18:                              ;   in Loop: Header=BB33_6 Depth=2
	s_or_b64 exec, exec, s[40:41]
	v_mov_b32_e32 v45, 0
	s_waitcnt lgkmcnt(0)
	s_barrier
	s_and_saveexec_b64 s[40:41], s[26:27]
; %bb.19:                               ;   in Loop: Header=BB33_6 Depth=2
	v_add_u32_e32 v45, -4, v21
	ds_read_b32 v45, v45
; %bb.20:                               ;   in Loop: Header=BB33_6 Depth=2
	s_or_b64 exec, exec, s[40:41]
	s_waitcnt lgkmcnt(0)
	v_add_u32_e32 v4, v45, v4
	ds_bpermute_b32 v4, v19, v4
	v_cmp_lt_u32_e32 vcc, 23, v32
	s_and_b64 vcc, exec, vcc
	s_mov_b64 s[40:41], -1
	s_waitcnt lgkmcnt(0)
	v_cndmask_b32_e64 v4, v4, v45, s[28:29]
	v_cndmask_b32_e64 v45, v4, 0, s[30:31]
	v_add_u32_e32 v46, v45, v1
	v_add_u32_e32 v1, v46, v2
	;; [unrolled: 1-line block ×3, first 2 shown]
	ds_write2_b64 v18, v[45:46], v[1:2] offset0:2 offset1:3
	s_waitcnt lgkmcnt(0)
	s_barrier
	ds_read_b32 v1, v36 offset:16
	ds_read_b32 v2, v38 offset:16
	;; [unrolled: 1-line block ×4, first 2 shown]
	s_waitcnt lgkmcnt(3)
	v_add_u32_e32 v38, v1, v35
	s_waitcnt lgkmcnt(2)
	v_add3_u32 v36, v39, v37, v2
	s_waitcnt lgkmcnt(1)
	v_add3_u32 v35, v42, v40, v3
	;; [unrolled: 2-line block ×3, first 2 shown]
                                        ; implicit-def: $vgpr4
                                        ; implicit-def: $vgpr2
	s_cbranch_vccnz .LBB33_5
; %bb.21:                               ;   in Loop: Header=BB33_6 Depth=2
	v_lshlrev_b32_e32 v1, 2, v38
	s_barrier
	ds_write_b32 v1, v34
	v_lshlrev_b32_e32 v1, 2, v36
	ds_write_b32 v1, v33
	v_lshlrev_b32_e32 v1, 2, v35
	;; [unrolled: 2-line block ×3, first 2 shown]
	ds_write_b32 v1, v5
	s_waitcnt lgkmcnt(0)
	s_barrier
	ds_read2st64_b32 v[1:2], v23 offset1:1
	ds_read2st64_b32 v[3:4], v23 offset0:2 offset1:3
	v_add_u32_e32 v32, 8, v32
	s_mov_b64 s[40:41], 0
	s_waitcnt lgkmcnt(0)
	s_barrier
	s_branch .LBB33_5
.LBB33_22:                              ;   in Loop: Header=BB33_2 Depth=1
	v_lshlrev_b32_e32 v1, 2, v38
	s_barrier
	ds_write_b32 v1, v34
	v_lshlrev_b32_e32 v1, 2, v36
	ds_write_b32 v1, v33
	v_lshlrev_b32_e32 v1, 2, v35
	;; [unrolled: 2-line block ×3, first 2 shown]
	ds_write_b32 v1, v5
	s_waitcnt lgkmcnt(0)
	s_barrier
	ds_read2_b64 v[1:4], v24 offset1:1
	s_waitcnt lgkmcnt(0)
	s_barrier
	s_and_saveexec_b64 s[40:41], s[0:1]
; %bb.23:                               ;   in Loop: Header=BB33_2 Depth=1
	v_mov_b32_e32 v5, 0x400
	ds_write2st64_b32 v26, v5, v5 offset0:8 offset1:12
; %bb.24:                               ;   in Loop: Header=BB33_2 Depth=1
	s_or_b64 exec, exec, s[40:41]
	v_xor_b32_e32 v6, 0x80000000, v4
	v_xor_b32_e32 v5, 0x80000000, v3
	v_cmp_ne_u32_e32 vcc, v3, v4
	v_mov_b32_e32 v3, v6
	s_waitcnt lgkmcnt(0)
	s_barrier
	ds_write_b32 v22, v6
	s_and_saveexec_b64 s[40:41], vcc
	s_cbranch_execz .LBB33_26
; %bb.25:                               ;   in Loop: Header=BB33_2 Depth=1
	v_lshlrev_b32_e32 v3, 2, v6
	v_lshlrev_b32_e32 v4, 2, v5
	ds_write_b32 v3, v27 offset:2048
	ds_write_b32 v4, v27 offset:3072
	v_mov_b32_e32 v3, v5
.LBB33_26:                              ;   in Loop: Header=BB33_2 Depth=1
	s_or_b64 exec, exec, s[40:41]
	v_xor_b32_e32 v4, 0x80000000, v2
	v_cmp_ne_u32_e32 vcc, v4, v3
	v_lshlrev_b32_e32 v8, 2, v4
	s_and_saveexec_b64 s[40:41], vcc
	s_cbranch_execz .LBB33_28
; %bb.27:                               ;   in Loop: Header=BB33_2 Depth=1
	v_lshlrev_b32_e32 v3, 2, v3
	ds_write_b32 v3, v28 offset:2048
	ds_write_b32 v8, v28 offset:3072
.LBB33_28:                              ;   in Loop: Header=BB33_2 Depth=1
	s_or_b64 exec, exec, s[40:41]
	v_xor_b32_e32 v3, 0x80000000, v1
	v_cmp_ne_u32_e32 vcc, v1, v2
	v_lshlrev_b32_e32 v1, 2, v3
	s_and_saveexec_b64 s[40:41], vcc
	s_cbranch_execz .LBB33_30
; %bb.29:                               ;   in Loop: Header=BB33_2 Depth=1
	ds_write_b32 v8, v29 offset:2048
	ds_write_b32 v1, v29 offset:3072
.LBB33_30:                              ;   in Loop: Header=BB33_2 Depth=1
	s_or_b64 exec, exec, s[40:41]
	s_waitcnt lgkmcnt(0)
	s_barrier
	s_and_saveexec_b64 s[40:41], s[34:35]
	s_cbranch_execz .LBB33_33
; %bb.31:                               ;   in Loop: Header=BB33_2 Depth=1
	ds_read_b32 v2, v30
	s_waitcnt lgkmcnt(0)
	v_cmp_ne_u32_e32 vcc, v2, v3
	s_and_b64 exec, exec, vcc
	s_cbranch_execz .LBB33_33
; %bb.32:                               ;   in Loop: Header=BB33_2 Depth=1
	ds_write_b32 v1, v13 offset:2048
	ds_read_b32 v2, v30
	s_waitcnt lgkmcnt(0)
	v_lshlrev_b32_e32 v2, 2, v2
	ds_write_b32 v2, v13 offset:3072
.LBB33_33:                              ;   in Loop: Header=BB33_2 Depth=1
	s_or_b64 exec, exec, s[40:41]
	s_waitcnt lgkmcnt(0)
	s_barrier
	s_and_saveexec_b64 s[40:41], s[30:31]
; %bb.34:                               ;   in Loop: Header=BB33_2 Depth=1
	ds_write_b32 v1, v7 offset:2048
; %bb.35:                               ;   in Loop: Header=BB33_2 Depth=1
	s_or_b64 exec, exec, s[40:41]
	s_waitcnt lgkmcnt(0)
	s_barrier
	s_and_saveexec_b64 s[40:41], s[0:1]
	s_cbranch_execz .LBB33_1
; %bb.36:                               ;   in Loop: Header=BB33_2 Depth=1
	ds_read2st64_b32 v[1:2], v26 offset0:8 offset1:12
	ds_read_b32 v8, v20
	s_waitcnt lgkmcnt(1)
	v_sub_u32_e32 v1, v2, v1
	s_waitcnt lgkmcnt(0)
	v_add_u32_e32 v1, v1, v8
	ds_write_b32 v20, v1
	s_branch .LBB33_1
.LBB33_37:
	s_and_saveexec_b64 s[2:3], s[0:1]
	s_cbranch_execz .LBB33_39
; %bb.38:
	v_lshl_or_b32 v0, s6, 8, v0
	v_mov_b32_e32 v1, 0
	ds_read_b32 v3, v20
	v_lshlrev_b64 v[0:1], 2, v[0:1]
	v_mov_b32_e32 v2, s43
	v_add_co_u32_e32 v0, vcc, s42, v0
	v_addc_co_u32_e32 v1, vcc, v2, v1, vcc
	s_waitcnt lgkmcnt(0)
	global_store_dword v[0:1], v3, off
.LBB33_39:
	s_endpgm
	.section	.rodata,"a",@progbits
	.p2align	6, 0x0
	.amdhsa_kernel _Z6kernelI9histogramILN6hipcub23BlockHistogramAlgorithmE1EEiLj256ELj4ELj256ELj100EEvPKT0_PS4_
		.amdhsa_group_segment_fixed_size 5136
		.amdhsa_private_segment_fixed_size 0
		.amdhsa_kernarg_size 272
		.amdhsa_user_sgpr_count 6
		.amdhsa_user_sgpr_private_segment_buffer 1
		.amdhsa_user_sgpr_dispatch_ptr 0
		.amdhsa_user_sgpr_queue_ptr 0
		.amdhsa_user_sgpr_kernarg_segment_ptr 1
		.amdhsa_user_sgpr_dispatch_id 0
		.amdhsa_user_sgpr_flat_scratch_init 0
		.amdhsa_user_sgpr_private_segment_size 0
		.amdhsa_uses_dynamic_stack 0
		.amdhsa_system_sgpr_private_segment_wavefront_offset 0
		.amdhsa_system_sgpr_workgroup_id_x 1
		.amdhsa_system_sgpr_workgroup_id_y 0
		.amdhsa_system_sgpr_workgroup_id_z 0
		.amdhsa_system_sgpr_workgroup_info 0
		.amdhsa_system_vgpr_workitem_id 2
		.amdhsa_next_free_vgpr 47
		.amdhsa_next_free_sgpr 48
		.amdhsa_reserve_vcc 1
		.amdhsa_reserve_flat_scratch 0
		.amdhsa_float_round_mode_32 0
		.amdhsa_float_round_mode_16_64 0
		.amdhsa_float_denorm_mode_32 3
		.amdhsa_float_denorm_mode_16_64 3
		.amdhsa_dx10_clamp 1
		.amdhsa_ieee_mode 1
		.amdhsa_fp16_overflow 0
		.amdhsa_exception_fp_ieee_invalid_op 0
		.amdhsa_exception_fp_denorm_src 0
		.amdhsa_exception_fp_ieee_div_zero 0
		.amdhsa_exception_fp_ieee_overflow 0
		.amdhsa_exception_fp_ieee_underflow 0
		.amdhsa_exception_fp_ieee_inexact 0
		.amdhsa_exception_int_div_zero 0
	.end_amdhsa_kernel
	.section	.text._Z6kernelI9histogramILN6hipcub23BlockHistogramAlgorithmE1EEiLj256ELj4ELj256ELj100EEvPKT0_PS4_,"axG",@progbits,_Z6kernelI9histogramILN6hipcub23BlockHistogramAlgorithmE1EEiLj256ELj4ELj256ELj100EEvPKT0_PS4_,comdat
.Lfunc_end33:
	.size	_Z6kernelI9histogramILN6hipcub23BlockHistogramAlgorithmE1EEiLj256ELj4ELj256ELj100EEvPKT0_PS4_, .Lfunc_end33-_Z6kernelI9histogramILN6hipcub23BlockHistogramAlgorithmE1EEiLj256ELj4ELj256ELj100EEvPKT0_PS4_
                                        ; -- End function
	.set _Z6kernelI9histogramILN6hipcub23BlockHistogramAlgorithmE1EEiLj256ELj4ELj256ELj100EEvPKT0_PS4_.num_vgpr, 47
	.set _Z6kernelI9histogramILN6hipcub23BlockHistogramAlgorithmE1EEiLj256ELj4ELj256ELj100EEvPKT0_PS4_.num_agpr, 0
	.set _Z6kernelI9histogramILN6hipcub23BlockHistogramAlgorithmE1EEiLj256ELj4ELj256ELj100EEvPKT0_PS4_.numbered_sgpr, 48
	.set _Z6kernelI9histogramILN6hipcub23BlockHistogramAlgorithmE1EEiLj256ELj4ELj256ELj100EEvPKT0_PS4_.num_named_barrier, 0
	.set _Z6kernelI9histogramILN6hipcub23BlockHistogramAlgorithmE1EEiLj256ELj4ELj256ELj100EEvPKT0_PS4_.private_seg_size, 0
	.set _Z6kernelI9histogramILN6hipcub23BlockHistogramAlgorithmE1EEiLj256ELj4ELj256ELj100EEvPKT0_PS4_.uses_vcc, 1
	.set _Z6kernelI9histogramILN6hipcub23BlockHistogramAlgorithmE1EEiLj256ELj4ELj256ELj100EEvPKT0_PS4_.uses_flat_scratch, 0
	.set _Z6kernelI9histogramILN6hipcub23BlockHistogramAlgorithmE1EEiLj256ELj4ELj256ELj100EEvPKT0_PS4_.has_dyn_sized_stack, 0
	.set _Z6kernelI9histogramILN6hipcub23BlockHistogramAlgorithmE1EEiLj256ELj4ELj256ELj100EEvPKT0_PS4_.has_recursion, 0
	.set _Z6kernelI9histogramILN6hipcub23BlockHistogramAlgorithmE1EEiLj256ELj4ELj256ELj100EEvPKT0_PS4_.has_indirect_call, 0
	.section	.AMDGPU.csdata,"",@progbits
; Kernel info:
; codeLenInByte = 3384
; TotalNumSgprs: 52
; NumVgprs: 47
; ScratchSize: 0
; MemoryBound: 0
; FloatMode: 240
; IeeeMode: 1
; LDSByteSize: 5136 bytes/workgroup (compile time only)
; SGPRBlocks: 6
; VGPRBlocks: 11
; NumSGPRsForWavesPerEU: 52
; NumVGPRsForWavesPerEU: 47
; Occupancy: 5
; WaveLimiterHint : 0
; COMPUTE_PGM_RSRC2:SCRATCH_EN: 0
; COMPUTE_PGM_RSRC2:USER_SGPR: 6
; COMPUTE_PGM_RSRC2:TRAP_HANDLER: 0
; COMPUTE_PGM_RSRC2:TGID_X_EN: 1
; COMPUTE_PGM_RSRC2:TGID_Y_EN: 0
; COMPUTE_PGM_RSRC2:TGID_Z_EN: 0
; COMPUTE_PGM_RSRC2:TIDIG_COMP_CNT: 2
	.section	.text._Z6kernelI9histogramILN6hipcub23BlockHistogramAlgorithmE1EEiLj256ELj8ELj256ELj100EEvPKT0_PS4_,"axG",@progbits,_Z6kernelI9histogramILN6hipcub23BlockHistogramAlgorithmE1EEiLj256ELj8ELj256ELj100EEvPKT0_PS4_,comdat
	.protected	_Z6kernelI9histogramILN6hipcub23BlockHistogramAlgorithmE1EEiLj256ELj8ELj256ELj100EEvPKT0_PS4_ ; -- Begin function _Z6kernelI9histogramILN6hipcub23BlockHistogramAlgorithmE1EEiLj256ELj8ELj256ELj100EEvPKT0_PS4_
	.globl	_Z6kernelI9histogramILN6hipcub23BlockHistogramAlgorithmE1EEiLj256ELj8ELj256ELj100EEvPKT0_PS4_
	.p2align	8
	.type	_Z6kernelI9histogramILN6hipcub23BlockHistogramAlgorithmE1EEiLj256ELj8ELj256ELj100EEvPKT0_PS4_,@function
_Z6kernelI9histogramILN6hipcub23BlockHistogramAlgorithmE1EEiLj256ELj8ELj256ELj100EEvPKT0_PS4_: ; @_Z6kernelI9histogramILN6hipcub23BlockHistogramAlgorithmE1EEiLj256ELj8ELj256ELj100EEvPKT0_PS4_
; %bb.0:
	s_load_dwordx4 s[36:39], s[4:5], 0x0
	s_load_dword s2, s[4:5], 0x1c
	v_lshlrev_b32_e32 v21, 3, v0
	v_mov_b32_e32 v15, 0
	v_lshl_or_b32 v3, s6, 11, v21
	v_mov_b32_e32 v4, v15
	v_lshlrev_b64 v[3:4], 2, v[3:4]
	s_waitcnt lgkmcnt(0)
	v_mov_b32_e32 v5, s37
	v_add_co_u32_e32 v11, vcc, s36, v3
	v_addc_co_u32_e32 v12, vcc, v5, v4, vcc
	global_load_dwordx4 v[7:10], v[11:12], off
	global_load_dwordx4 v[3:6], v[11:12], off offset:16
	s_lshr_b32 s3, s2, 16
	v_mbcnt_lo_u32_b32 v11, -1, 0
	s_and_b32 s2, s2, 0xffff
	v_mad_u32_u24 v1, v2, s3, v1
	v_mbcnt_hi_u32_b32 v11, -1, v11
	v_mad_u64_u32 v[1:2], s[2:3], v1, s2, v[0:1]
	v_and_b32_e32 v2, 15, v11
	v_and_b32_e32 v12, 0xc0, v0
	v_cmp_eq_u32_e64 s[2:3], 0, v2
	v_cmp_lt_u32_e64 s[4:5], 1, v2
	v_cmp_lt_u32_e64 s[30:31], 3, v2
	v_cmp_lt_u32_e64 s[8:9], 7, v2
	v_and_b32_e32 v2, 16, v11
	v_cmp_eq_u32_e64 s[10:11], 0, v2
	v_or_b32_e32 v2, 63, v12
	v_add_lshl_u32 v22, v11, v12, 5
	v_cmp_eq_u32_e64 s[14:15], v0, v2
	v_subrev_co_u32_e64 v2, s[20:21], 1, v11
	v_and_b32_e32 v12, 64, v11
	v_cmp_lt_i32_e32 vcc, v2, v12
	v_cndmask_b32_e32 v2, v2, v11, vcc
	v_lshlrev_b32_e32 v25, 2, v2
	v_lshrrev_b32_e32 v2, 4, v0
	s_mov_b32 s36, 0
	v_lshlrev_b32_e32 v24, 4, v0
	v_and_b32_e32 v26, 12, v2
	v_and_b32_e32 v2, 3, v11
	v_lshlrev_b32_e32 v13, 5, v0
	v_mad_i32_i24 v27, v0, -12, v24
	v_cmp_eq_u32_e64 s[26:27], 0, v2
	v_cmp_lt_u32_e64 s[28:29], 1, v2
	v_mov_b32_e32 v2, 0x2000
	s_mov_b32 s34, s36
	s_movk_i32 s0, 0x100
	v_and_b32_e32 v13, 0x1800, v13
	v_mad_u32_u24 v29, v0, 28, v27
	v_lshl_or_b32 v30, v0, 2, v2
	v_mul_i32_i24_e32 v2, 0xffffffe4, v0
	v_lshrrev_b32_e32 v1, 4, v1
	s_mov_b32 s37, s36
	s_mov_b32 s35, s36
	v_mov_b32_e32 v17, s36
	v_mov_b32_e32 v19, s34
	v_cmp_gt_u32_e64 s[0:1], s0, v0
	v_lshl_or_b32 v23, v11, 2, v13
	v_cmp_lt_u32_e64 s[12:13], 31, v11
	v_cmp_gt_u32_e64 s[16:17], 4, v0
	v_cmp_lt_u32_e64 s[18:19], 63, v0
	v_cmp_eq_u32_e64 s[22:23], 0, v0
	v_cmp_ne_u32_e64 s[24:25], 0, v0
	v_add_u32_e32 v28, -4, v26
	v_or_b32_e32 v31, 7, v21
	v_or_b32_e32 v32, 6, v21
	;; [unrolled: 1-line block ×7, first 2 shown]
	v_add_u32_e32 v38, -4, v27
	v_and_b32_e32 v39, 0xffffffc, v1
	v_mov_b32_e32 v40, 0x800
	v_mov_b32_e32 v41, 4
	v_add_u32_e32 v42, v29, v2
	v_mov_b32_e32 v18, s37
	v_mov_b32_e32 v20, s35
	s_branch .LBB34_2
.LBB34_1:                               ;   in Loop: Header=BB34_2 Depth=1
	s_or_b64 exec, exec, s[34:35]
	s_waitcnt lgkmcnt(0)
	s_barrier
	ds_read2st64_b32 v[1:2], v42 offset0:8 offset1:12
	ds_read_b32 v11, v30
	s_add_i32 s36, s36, 1
	s_cmpk_lg_i32 s36, 0x64
	s_waitcnt lgkmcnt(1)
	v_sub_u32_e32 v1, v2, v1
	s_waitcnt lgkmcnt(0)
	v_add_u32_e32 v1, v1, v11
	ds_write_b32 v30, v1
	s_cbranch_scc0 .LBB34_49
.LBB34_2:                               ; =>This Loop Header: Depth=1
                                        ;     Child Loop BB34_6 Depth 2
	s_and_saveexec_b64 s[34:35], s[0:1]
; %bb.3:                                ;   in Loop: Header=BB34_2 Depth=1
	ds_write_b32 v30, v15
; %bb.4:                                ;   in Loop: Header=BB34_2 Depth=1
	s_or_b64 exec, exec, s[34:35]
	s_waitcnt vmcnt(1)
	v_xor_b32_e32 v1, 0x80000000, v7
	v_xor_b32_e32 v2, 0x80000000, v8
	;; [unrolled: 1-line block ×4, first 2 shown]
	s_waitcnt vmcnt(0)
	v_xor_b32_e32 v3, 0x80000000, v3
	v_xor_b32_e32 v4, 0x80000000, v4
	;; [unrolled: 1-line block ×4, first 2 shown]
	s_waitcnt lgkmcnt(0)
	s_barrier
	ds_write2_b64 v22, v[1:2], v[7:8] offset1:1
	ds_write2_b64 v22, v[3:4], v[5:6] offset0:2 offset1:3
	; wave barrier
	ds_read2st64_b32 v[1:2], v23 offset1:1
	ds_read2st64_b32 v[3:4], v23 offset0:2 offset1:3
	ds_read2st64_b32 v[5:6], v23 offset0:4 offset1:5
	;; [unrolled: 1-line block ×3, first 2 shown]
	v_mov_b32_e32 v12, 0
	s_waitcnt lgkmcnt(0)
	s_barrier
	; wave barrier
	s_barrier
	s_branch .LBB34_6
.LBB34_5:                               ;   in Loop: Header=BB34_6 Depth=2
	s_andn2_b64 vcc, exec, s[34:35]
	s_cbranch_vccz .LBB34_30
.LBB34_6:                               ;   Parent Loop BB34_2 Depth=1
                                        ; =>  This Inner Loop Header: Depth=2
	v_mov_b32_e32 v45, v1
	v_lshrrev_b32_e32 v1, v12, v45
	v_mov_b32_e32 v44, v2
	v_and_b32_e32 v2, 1, v1
	v_mov_b32_e32 v14, v4
	v_add_co_u32_e32 v4, vcc, -1, v2
	v_mov_b32_e32 v13, v5
	v_addc_co_u32_e64 v5, s[34:35], 0, -1, vcc
	v_cmp_ne_u32_e32 vcc, 0, v2
	v_lshlrev_b32_e32 v16, 30, v1
	v_xor_b32_e32 v2, vcc_hi, v5
	v_xor_b32_e32 v4, vcc_lo, v4
	v_cmp_gt_i64_e32 vcc, 0, v[15:16]
	v_not_b32_e32 v5, v16
	v_ashrrev_i32_e32 v5, 31, v5
	v_mov_b32_e32 v11, v6
	v_and_b32_e32 v4, exec_lo, v4
	v_xor_b32_e32 v6, vcc_hi, v5
	v_xor_b32_e32 v5, vcc_lo, v5
	v_lshlrev_b32_e32 v16, 29, v1
	v_and_b32_e32 v4, v4, v5
	v_cmp_gt_i64_e32 vcc, 0, v[15:16]
	v_not_b32_e32 v5, v16
	v_and_b32_e32 v2, exec_hi, v2
	v_ashrrev_i32_e32 v5, 31, v5
	v_and_b32_e32 v2, v2, v6
	v_xor_b32_e32 v6, vcc_hi, v5
	v_xor_b32_e32 v5, vcc_lo, v5
	v_lshlrev_b32_e32 v16, 28, v1
	v_and_b32_e32 v4, v4, v5
	v_cmp_gt_i64_e32 vcc, 0, v[15:16]
	v_not_b32_e32 v5, v16
	v_ashrrev_i32_e32 v5, 31, v5
	v_and_b32_e32 v2, v2, v6
	v_xor_b32_e32 v6, vcc_hi, v5
	v_xor_b32_e32 v5, vcc_lo, v5
	v_lshlrev_b32_e32 v16, 27, v1
	v_and_b32_e32 v4, v4, v5
	v_cmp_gt_i64_e32 vcc, 0, v[15:16]
	v_not_b32_e32 v5, v16
	;; [unrolled: 8-line block ×4, first 2 shown]
	v_ashrrev_i32_e32 v5, 31, v5
	v_lshlrev_b32_e32 v16, 24, v1
	v_mov_b32_e32 v43, v3
	v_lshlrev_b32_sdwa v3, v41, v1 dst_sel:DWORD dst_unused:UNUSED_PAD src0_sel:DWORD src1_sel:BYTE_0
	v_and_b32_e32 v2, v2, v6
	v_xor_b32_e32 v6, vcc_hi, v5
	v_xor_b32_e32 v5, vcc_lo, v5
	v_cmp_gt_i64_e32 vcc, 0, v[15:16]
	v_not_b32_e32 v1, v16
	v_ashrrev_i32_e32 v1, 31, v1
	v_and_b32_e32 v4, v4, v5
	v_xor_b32_e32 v5, vcc_hi, v1
	v_xor_b32_e32 v1, vcc_lo, v1
	v_and_b32_e32 v2, v2, v6
	v_and_b32_e32 v1, v4, v1
	;; [unrolled: 1-line block ×3, first 2 shown]
	v_mbcnt_lo_u32_b32 v4, v1, 0
	v_mbcnt_hi_u32_b32 v5, v2, v4
	v_cmp_ne_u64_e32 vcc, 0, v[1:2]
	v_cmp_eq_u32_e64 s[34:35], 0, v5
	v_mov_b32_e32 v9, v8
	v_mov_b32_e32 v10, v7
	s_and_b64 s[40:41], vcc, s[34:35]
	v_add_u32_e32 v6, v39, v3
	ds_write2_b64 v24, v[17:18], v[19:20] offset0:2 offset1:3
	s_waitcnt lgkmcnt(0)
	s_barrier
	; wave barrier
	s_and_saveexec_b64 s[34:35], s[40:41]
; %bb.7:                                ;   in Loop: Header=BB34_6 Depth=2
	v_bcnt_u32_b32 v1, v1, 0
	v_bcnt_u32_b32 v1, v2, v1
	ds_write_b32 v6, v1 offset:16
; %bb.8:                                ;   in Loop: Header=BB34_6 Depth=2
	s_or_b64 exec, exec, s[34:35]
	v_lshrrev_b32_e32 v1, v12, v44
	v_lshlrev_b32_sdwa v2, v41, v1 dst_sel:DWORD dst_unused:UNUSED_PAD src0_sel:DWORD src1_sel:BYTE_0
	v_add_u32_e32 v8, v39, v2
	v_and_b32_e32 v2, 1, v1
	v_add_co_u32_e32 v3, vcc, -1, v2
	v_addc_co_u32_e64 v4, s[34:35], 0, -1, vcc
	v_cmp_ne_u32_e32 vcc, 0, v2
	v_lshlrev_b32_e32 v16, 30, v1
	v_xor_b32_e32 v2, vcc_hi, v4
	v_xor_b32_e32 v3, vcc_lo, v3
	v_cmp_gt_i64_e32 vcc, 0, v[15:16]
	v_not_b32_e32 v4, v16
	v_ashrrev_i32_e32 v4, 31, v4
	v_and_b32_e32 v2, exec_hi, v2
	v_xor_b32_e32 v16, vcc_hi, v4
	v_and_b32_e32 v3, exec_lo, v3
	v_xor_b32_e32 v4, vcc_lo, v4
	v_and_b32_e32 v2, v2, v16
	v_lshlrev_b32_e32 v16, 29, v1
	v_and_b32_e32 v3, v3, v4
	v_cmp_gt_i64_e32 vcc, 0, v[15:16]
	v_not_b32_e32 v4, v16
	v_ashrrev_i32_e32 v4, 31, v4
	v_xor_b32_e32 v16, vcc_hi, v4
	v_xor_b32_e32 v4, vcc_lo, v4
	v_and_b32_e32 v2, v2, v16
	v_lshlrev_b32_e32 v16, 28, v1
	v_and_b32_e32 v3, v3, v4
	v_cmp_gt_i64_e32 vcc, 0, v[15:16]
	v_not_b32_e32 v4, v16
	v_ashrrev_i32_e32 v4, 31, v4
	v_xor_b32_e32 v16, vcc_hi, v4
	;; [unrolled: 8-line block ×5, first 2 shown]
	v_and_b32_e32 v2, v2, v16
	v_lshlrev_b32_e32 v16, 24, v1
	v_xor_b32_e32 v4, vcc_lo, v4
	v_cmp_gt_i64_e32 vcc, 0, v[15:16]
	v_not_b32_e32 v1, v16
	v_ashrrev_i32_e32 v1, 31, v1
	v_and_b32_e32 v3, v3, v4
	v_xor_b32_e32 v4, vcc_hi, v1
	v_xor_b32_e32 v1, vcc_lo, v1
	; wave barrier
	ds_read_b32 v7, v8 offset:16
	v_and_b32_e32 v1, v3, v1
	v_and_b32_e32 v2, v2, v4
	v_mbcnt_lo_u32_b32 v3, v1, 0
	v_mbcnt_hi_u32_b32 v46, v2, v3
	v_cmp_ne_u64_e32 vcc, 0, v[1:2]
	v_cmp_eq_u32_e64 s[34:35], 0, v46
	s_and_b64 s[40:41], vcc, s[34:35]
	; wave barrier
	s_and_saveexec_b64 s[34:35], s[40:41]
	s_cbranch_execz .LBB34_10
; %bb.9:                                ;   in Loop: Header=BB34_6 Depth=2
	v_bcnt_u32_b32 v1, v1, 0
	v_bcnt_u32_b32 v1, v2, v1
	s_waitcnt lgkmcnt(0)
	v_add_u32_e32 v1, v7, v1
	ds_write_b32 v8, v1 offset:16
.LBB34_10:                              ;   in Loop: Header=BB34_6 Depth=2
	s_or_b64 exec, exec, s[34:35]
	v_lshrrev_b32_e32 v1, v12, v43
	v_lshlrev_b32_sdwa v2, v41, v1 dst_sel:DWORD dst_unused:UNUSED_PAD src0_sel:DWORD src1_sel:BYTE_0
	v_add_u32_e32 v48, v39, v2
	v_and_b32_e32 v2, 1, v1
	v_add_co_u32_e32 v3, vcc, -1, v2
	v_addc_co_u32_e64 v4, s[34:35], 0, -1, vcc
	v_cmp_ne_u32_e32 vcc, 0, v2
	v_lshlrev_b32_e32 v16, 30, v1
	v_xor_b32_e32 v2, vcc_hi, v4
	v_xor_b32_e32 v3, vcc_lo, v3
	v_cmp_gt_i64_e32 vcc, 0, v[15:16]
	v_not_b32_e32 v4, v16
	v_ashrrev_i32_e32 v4, 31, v4
	v_and_b32_e32 v2, exec_hi, v2
	v_xor_b32_e32 v16, vcc_hi, v4
	v_and_b32_e32 v3, exec_lo, v3
	v_xor_b32_e32 v4, vcc_lo, v4
	v_and_b32_e32 v2, v2, v16
	v_lshlrev_b32_e32 v16, 29, v1
	v_and_b32_e32 v3, v3, v4
	v_cmp_gt_i64_e32 vcc, 0, v[15:16]
	v_not_b32_e32 v4, v16
	v_ashrrev_i32_e32 v4, 31, v4
	v_xor_b32_e32 v16, vcc_hi, v4
	v_xor_b32_e32 v4, vcc_lo, v4
	v_and_b32_e32 v2, v2, v16
	v_lshlrev_b32_e32 v16, 28, v1
	v_and_b32_e32 v3, v3, v4
	v_cmp_gt_i64_e32 vcc, 0, v[15:16]
	v_not_b32_e32 v4, v16
	v_ashrrev_i32_e32 v4, 31, v4
	v_xor_b32_e32 v16, vcc_hi, v4
	;; [unrolled: 8-line block ×5, first 2 shown]
	v_and_b32_e32 v2, v2, v16
	v_lshlrev_b32_e32 v16, 24, v1
	v_xor_b32_e32 v4, vcc_lo, v4
	v_cmp_gt_i64_e32 vcc, 0, v[15:16]
	v_not_b32_e32 v1, v16
	v_ashrrev_i32_e32 v1, 31, v1
	v_and_b32_e32 v3, v3, v4
	v_xor_b32_e32 v4, vcc_hi, v1
	v_xor_b32_e32 v1, vcc_lo, v1
	; wave barrier
	ds_read_b32 v47, v48 offset:16
	v_and_b32_e32 v1, v3, v1
	v_and_b32_e32 v2, v2, v4
	v_mbcnt_lo_u32_b32 v3, v1, 0
	v_mbcnt_hi_u32_b32 v49, v2, v3
	v_cmp_ne_u64_e32 vcc, 0, v[1:2]
	v_cmp_eq_u32_e64 s[34:35], 0, v49
	s_and_b64 s[40:41], vcc, s[34:35]
	; wave barrier
	s_and_saveexec_b64 s[34:35], s[40:41]
	s_cbranch_execz .LBB34_12
; %bb.11:                               ;   in Loop: Header=BB34_6 Depth=2
	v_bcnt_u32_b32 v1, v1, 0
	v_bcnt_u32_b32 v1, v2, v1
	s_waitcnt lgkmcnt(0)
	v_add_u32_e32 v1, v47, v1
	ds_write_b32 v48, v1 offset:16
.LBB34_12:                              ;   in Loop: Header=BB34_6 Depth=2
	s_or_b64 exec, exec, s[34:35]
	v_lshrrev_b32_e32 v1, v12, v14
	v_lshlrev_b32_sdwa v2, v41, v1 dst_sel:DWORD dst_unused:UNUSED_PAD src0_sel:DWORD src1_sel:BYTE_0
	v_add_u32_e32 v51, v39, v2
	v_and_b32_e32 v2, 1, v1
	v_add_co_u32_e32 v3, vcc, -1, v2
	v_addc_co_u32_e64 v4, s[34:35], 0, -1, vcc
	v_cmp_ne_u32_e32 vcc, 0, v2
	v_lshlrev_b32_e32 v16, 30, v1
	v_xor_b32_e32 v2, vcc_hi, v4
	v_xor_b32_e32 v3, vcc_lo, v3
	v_cmp_gt_i64_e32 vcc, 0, v[15:16]
	v_not_b32_e32 v4, v16
	v_ashrrev_i32_e32 v4, 31, v4
	v_and_b32_e32 v2, exec_hi, v2
	v_xor_b32_e32 v16, vcc_hi, v4
	v_and_b32_e32 v3, exec_lo, v3
	v_xor_b32_e32 v4, vcc_lo, v4
	v_and_b32_e32 v2, v2, v16
	v_lshlrev_b32_e32 v16, 29, v1
	v_and_b32_e32 v3, v3, v4
	v_cmp_gt_i64_e32 vcc, 0, v[15:16]
	v_not_b32_e32 v4, v16
	v_ashrrev_i32_e32 v4, 31, v4
	v_xor_b32_e32 v16, vcc_hi, v4
	v_xor_b32_e32 v4, vcc_lo, v4
	v_and_b32_e32 v2, v2, v16
	v_lshlrev_b32_e32 v16, 28, v1
	v_and_b32_e32 v3, v3, v4
	v_cmp_gt_i64_e32 vcc, 0, v[15:16]
	v_not_b32_e32 v4, v16
	v_ashrrev_i32_e32 v4, 31, v4
	v_xor_b32_e32 v16, vcc_hi, v4
	;; [unrolled: 8-line block ×5, first 2 shown]
	v_and_b32_e32 v2, v2, v16
	v_lshlrev_b32_e32 v16, 24, v1
	v_xor_b32_e32 v4, vcc_lo, v4
	v_cmp_gt_i64_e32 vcc, 0, v[15:16]
	v_not_b32_e32 v1, v16
	v_ashrrev_i32_e32 v1, 31, v1
	v_and_b32_e32 v3, v3, v4
	v_xor_b32_e32 v4, vcc_hi, v1
	v_xor_b32_e32 v1, vcc_lo, v1
	; wave barrier
	ds_read_b32 v50, v51 offset:16
	v_and_b32_e32 v1, v3, v1
	v_and_b32_e32 v2, v2, v4
	v_mbcnt_lo_u32_b32 v3, v1, 0
	v_mbcnt_hi_u32_b32 v52, v2, v3
	v_cmp_ne_u64_e32 vcc, 0, v[1:2]
	v_cmp_eq_u32_e64 s[34:35], 0, v52
	s_and_b64 s[40:41], vcc, s[34:35]
	; wave barrier
	s_and_saveexec_b64 s[34:35], s[40:41]
	s_cbranch_execz .LBB34_14
; %bb.13:                               ;   in Loop: Header=BB34_6 Depth=2
	v_bcnt_u32_b32 v1, v1, 0
	v_bcnt_u32_b32 v1, v2, v1
	s_waitcnt lgkmcnt(0)
	v_add_u32_e32 v1, v50, v1
	ds_write_b32 v51, v1 offset:16
.LBB34_14:                              ;   in Loop: Header=BB34_6 Depth=2
	s_or_b64 exec, exec, s[34:35]
	v_lshrrev_b32_e32 v1, v12, v13
	v_lshlrev_b32_sdwa v2, v41, v1 dst_sel:DWORD dst_unused:UNUSED_PAD src0_sel:DWORD src1_sel:BYTE_0
	v_add_u32_e32 v54, v39, v2
	v_and_b32_e32 v2, 1, v1
	v_add_co_u32_e32 v3, vcc, -1, v2
	v_addc_co_u32_e64 v4, s[34:35], 0, -1, vcc
	v_cmp_ne_u32_e32 vcc, 0, v2
	v_lshlrev_b32_e32 v16, 30, v1
	v_xor_b32_e32 v2, vcc_hi, v4
	v_xor_b32_e32 v3, vcc_lo, v3
	v_cmp_gt_i64_e32 vcc, 0, v[15:16]
	v_not_b32_e32 v4, v16
	v_ashrrev_i32_e32 v4, 31, v4
	v_and_b32_e32 v2, exec_hi, v2
	v_xor_b32_e32 v16, vcc_hi, v4
	v_and_b32_e32 v3, exec_lo, v3
	v_xor_b32_e32 v4, vcc_lo, v4
	v_and_b32_e32 v2, v2, v16
	v_lshlrev_b32_e32 v16, 29, v1
	v_and_b32_e32 v3, v3, v4
	v_cmp_gt_i64_e32 vcc, 0, v[15:16]
	v_not_b32_e32 v4, v16
	v_ashrrev_i32_e32 v4, 31, v4
	v_xor_b32_e32 v16, vcc_hi, v4
	v_xor_b32_e32 v4, vcc_lo, v4
	v_and_b32_e32 v2, v2, v16
	v_lshlrev_b32_e32 v16, 28, v1
	v_and_b32_e32 v3, v3, v4
	v_cmp_gt_i64_e32 vcc, 0, v[15:16]
	v_not_b32_e32 v4, v16
	v_ashrrev_i32_e32 v4, 31, v4
	v_xor_b32_e32 v16, vcc_hi, v4
	;; [unrolled: 8-line block ×5, first 2 shown]
	v_and_b32_e32 v2, v2, v16
	v_lshlrev_b32_e32 v16, 24, v1
	v_xor_b32_e32 v4, vcc_lo, v4
	v_cmp_gt_i64_e32 vcc, 0, v[15:16]
	v_not_b32_e32 v1, v16
	v_ashrrev_i32_e32 v1, 31, v1
	v_and_b32_e32 v3, v3, v4
	v_xor_b32_e32 v4, vcc_hi, v1
	v_xor_b32_e32 v1, vcc_lo, v1
	; wave barrier
	ds_read_b32 v53, v54 offset:16
	v_and_b32_e32 v1, v3, v1
	v_and_b32_e32 v2, v2, v4
	v_mbcnt_lo_u32_b32 v3, v1, 0
	v_mbcnt_hi_u32_b32 v55, v2, v3
	v_cmp_ne_u64_e32 vcc, 0, v[1:2]
	v_cmp_eq_u32_e64 s[34:35], 0, v55
	s_and_b64 s[40:41], vcc, s[34:35]
	; wave barrier
	s_and_saveexec_b64 s[34:35], s[40:41]
	s_cbranch_execz .LBB34_16
; %bb.15:                               ;   in Loop: Header=BB34_6 Depth=2
	v_bcnt_u32_b32 v1, v1, 0
	v_bcnt_u32_b32 v1, v2, v1
	s_waitcnt lgkmcnt(0)
	v_add_u32_e32 v1, v53, v1
	ds_write_b32 v54, v1 offset:16
.LBB34_16:                              ;   in Loop: Header=BB34_6 Depth=2
	s_or_b64 exec, exec, s[34:35]
	v_lshrrev_b32_e32 v1, v12, v11
	v_lshlrev_b32_sdwa v2, v41, v1 dst_sel:DWORD dst_unused:UNUSED_PAD src0_sel:DWORD src1_sel:BYTE_0
	v_add_u32_e32 v57, v39, v2
	v_and_b32_e32 v2, 1, v1
	v_add_co_u32_e32 v3, vcc, -1, v2
	v_addc_co_u32_e64 v4, s[34:35], 0, -1, vcc
	v_cmp_ne_u32_e32 vcc, 0, v2
	v_lshlrev_b32_e32 v16, 30, v1
	v_xor_b32_e32 v2, vcc_hi, v4
	v_xor_b32_e32 v3, vcc_lo, v3
	v_cmp_gt_i64_e32 vcc, 0, v[15:16]
	v_not_b32_e32 v4, v16
	v_ashrrev_i32_e32 v4, 31, v4
	v_and_b32_e32 v2, exec_hi, v2
	v_xor_b32_e32 v16, vcc_hi, v4
	v_and_b32_e32 v3, exec_lo, v3
	v_xor_b32_e32 v4, vcc_lo, v4
	v_and_b32_e32 v2, v2, v16
	v_lshlrev_b32_e32 v16, 29, v1
	v_and_b32_e32 v3, v3, v4
	v_cmp_gt_i64_e32 vcc, 0, v[15:16]
	v_not_b32_e32 v4, v16
	v_ashrrev_i32_e32 v4, 31, v4
	v_xor_b32_e32 v16, vcc_hi, v4
	v_xor_b32_e32 v4, vcc_lo, v4
	v_and_b32_e32 v2, v2, v16
	v_lshlrev_b32_e32 v16, 28, v1
	v_and_b32_e32 v3, v3, v4
	v_cmp_gt_i64_e32 vcc, 0, v[15:16]
	v_not_b32_e32 v4, v16
	v_ashrrev_i32_e32 v4, 31, v4
	v_xor_b32_e32 v16, vcc_hi, v4
	;; [unrolled: 8-line block ×5, first 2 shown]
	v_and_b32_e32 v2, v2, v16
	v_lshlrev_b32_e32 v16, 24, v1
	v_xor_b32_e32 v4, vcc_lo, v4
	v_cmp_gt_i64_e32 vcc, 0, v[15:16]
	v_not_b32_e32 v1, v16
	v_ashrrev_i32_e32 v1, 31, v1
	v_and_b32_e32 v3, v3, v4
	v_xor_b32_e32 v4, vcc_hi, v1
	v_xor_b32_e32 v1, vcc_lo, v1
	; wave barrier
	ds_read_b32 v56, v57 offset:16
	v_and_b32_e32 v1, v3, v1
	v_and_b32_e32 v2, v2, v4
	v_mbcnt_lo_u32_b32 v3, v1, 0
	v_mbcnt_hi_u32_b32 v58, v2, v3
	v_cmp_ne_u64_e32 vcc, 0, v[1:2]
	v_cmp_eq_u32_e64 s[34:35], 0, v58
	s_and_b64 s[40:41], vcc, s[34:35]
	; wave barrier
	s_and_saveexec_b64 s[34:35], s[40:41]
	s_cbranch_execz .LBB34_18
; %bb.17:                               ;   in Loop: Header=BB34_6 Depth=2
	v_bcnt_u32_b32 v1, v1, 0
	v_bcnt_u32_b32 v1, v2, v1
	s_waitcnt lgkmcnt(0)
	v_add_u32_e32 v1, v56, v1
	ds_write_b32 v57, v1 offset:16
.LBB34_18:                              ;   in Loop: Header=BB34_6 Depth=2
	s_or_b64 exec, exec, s[34:35]
	v_lshrrev_b32_e32 v1, v12, v10
	v_lshlrev_b32_sdwa v2, v41, v1 dst_sel:DWORD dst_unused:UNUSED_PAD src0_sel:DWORD src1_sel:BYTE_0
	v_add_u32_e32 v60, v39, v2
	v_and_b32_e32 v2, 1, v1
	v_add_co_u32_e32 v3, vcc, -1, v2
	v_addc_co_u32_e64 v4, s[34:35], 0, -1, vcc
	v_cmp_ne_u32_e32 vcc, 0, v2
	v_lshlrev_b32_e32 v16, 30, v1
	v_xor_b32_e32 v2, vcc_hi, v4
	v_xor_b32_e32 v3, vcc_lo, v3
	v_cmp_gt_i64_e32 vcc, 0, v[15:16]
	v_not_b32_e32 v4, v16
	v_ashrrev_i32_e32 v4, 31, v4
	v_and_b32_e32 v2, exec_hi, v2
	v_xor_b32_e32 v16, vcc_hi, v4
	v_and_b32_e32 v3, exec_lo, v3
	v_xor_b32_e32 v4, vcc_lo, v4
	v_and_b32_e32 v2, v2, v16
	v_lshlrev_b32_e32 v16, 29, v1
	v_and_b32_e32 v3, v3, v4
	v_cmp_gt_i64_e32 vcc, 0, v[15:16]
	v_not_b32_e32 v4, v16
	v_ashrrev_i32_e32 v4, 31, v4
	v_xor_b32_e32 v16, vcc_hi, v4
	v_xor_b32_e32 v4, vcc_lo, v4
	v_and_b32_e32 v2, v2, v16
	v_lshlrev_b32_e32 v16, 28, v1
	v_and_b32_e32 v3, v3, v4
	v_cmp_gt_i64_e32 vcc, 0, v[15:16]
	v_not_b32_e32 v4, v16
	v_ashrrev_i32_e32 v4, 31, v4
	v_xor_b32_e32 v16, vcc_hi, v4
	;; [unrolled: 8-line block ×5, first 2 shown]
	v_and_b32_e32 v2, v2, v16
	v_lshlrev_b32_e32 v16, 24, v1
	v_xor_b32_e32 v4, vcc_lo, v4
	v_cmp_gt_i64_e32 vcc, 0, v[15:16]
	v_not_b32_e32 v1, v16
	v_ashrrev_i32_e32 v1, 31, v1
	v_and_b32_e32 v3, v3, v4
	v_xor_b32_e32 v4, vcc_hi, v1
	v_xor_b32_e32 v1, vcc_lo, v1
	; wave barrier
	ds_read_b32 v59, v60 offset:16
	v_and_b32_e32 v1, v3, v1
	v_and_b32_e32 v2, v2, v4
	v_mbcnt_lo_u32_b32 v3, v1, 0
	v_mbcnt_hi_u32_b32 v61, v2, v3
	v_cmp_ne_u64_e32 vcc, 0, v[1:2]
	v_cmp_eq_u32_e64 s[34:35], 0, v61
	s_and_b64 s[40:41], vcc, s[34:35]
	; wave barrier
	s_and_saveexec_b64 s[34:35], s[40:41]
	s_cbranch_execz .LBB34_20
; %bb.19:                               ;   in Loop: Header=BB34_6 Depth=2
	v_bcnt_u32_b32 v1, v1, 0
	v_bcnt_u32_b32 v1, v2, v1
	s_waitcnt lgkmcnt(0)
	v_add_u32_e32 v1, v59, v1
	ds_write_b32 v60, v1 offset:16
.LBB34_20:                              ;   in Loop: Header=BB34_6 Depth=2
	s_or_b64 exec, exec, s[34:35]
	v_lshrrev_b32_e32 v1, v12, v9
	v_lshlrev_b32_sdwa v2, v41, v1 dst_sel:DWORD dst_unused:UNUSED_PAD src0_sel:DWORD src1_sel:BYTE_0
	v_add_u32_e32 v63, v39, v2
	v_and_b32_e32 v2, 1, v1
	v_add_co_u32_e32 v3, vcc, -1, v2
	v_addc_co_u32_e64 v4, s[34:35], 0, -1, vcc
	v_cmp_ne_u32_e32 vcc, 0, v2
	v_lshlrev_b32_e32 v16, 30, v1
	v_xor_b32_e32 v2, vcc_hi, v4
	v_xor_b32_e32 v3, vcc_lo, v3
	v_cmp_gt_i64_e32 vcc, 0, v[15:16]
	v_not_b32_e32 v4, v16
	v_ashrrev_i32_e32 v4, 31, v4
	v_and_b32_e32 v2, exec_hi, v2
	v_xor_b32_e32 v16, vcc_hi, v4
	v_and_b32_e32 v3, exec_lo, v3
	v_xor_b32_e32 v4, vcc_lo, v4
	v_and_b32_e32 v2, v2, v16
	v_lshlrev_b32_e32 v16, 29, v1
	v_and_b32_e32 v3, v3, v4
	v_cmp_gt_i64_e32 vcc, 0, v[15:16]
	v_not_b32_e32 v4, v16
	v_ashrrev_i32_e32 v4, 31, v4
	v_xor_b32_e32 v16, vcc_hi, v4
	v_xor_b32_e32 v4, vcc_lo, v4
	v_and_b32_e32 v2, v2, v16
	v_lshlrev_b32_e32 v16, 28, v1
	v_and_b32_e32 v3, v3, v4
	v_cmp_gt_i64_e32 vcc, 0, v[15:16]
	v_not_b32_e32 v4, v16
	v_ashrrev_i32_e32 v4, 31, v4
	v_xor_b32_e32 v16, vcc_hi, v4
	;; [unrolled: 8-line block ×5, first 2 shown]
	v_and_b32_e32 v2, v2, v16
	v_lshlrev_b32_e32 v16, 24, v1
	v_xor_b32_e32 v4, vcc_lo, v4
	v_cmp_gt_i64_e32 vcc, 0, v[15:16]
	v_not_b32_e32 v1, v16
	v_ashrrev_i32_e32 v1, 31, v1
	v_and_b32_e32 v3, v3, v4
	v_xor_b32_e32 v4, vcc_hi, v1
	v_xor_b32_e32 v1, vcc_lo, v1
	; wave barrier
	ds_read_b32 v62, v63 offset:16
	v_and_b32_e32 v1, v3, v1
	v_and_b32_e32 v2, v2, v4
	v_mbcnt_lo_u32_b32 v3, v1, 0
	v_mbcnt_hi_u32_b32 v16, v2, v3
	v_cmp_ne_u64_e32 vcc, 0, v[1:2]
	v_cmp_eq_u32_e64 s[34:35], 0, v16
	s_and_b64 s[40:41], vcc, s[34:35]
	; wave barrier
	s_and_saveexec_b64 s[34:35], s[40:41]
	s_cbranch_execz .LBB34_22
; %bb.21:                               ;   in Loop: Header=BB34_6 Depth=2
	v_bcnt_u32_b32 v1, v1, 0
	v_bcnt_u32_b32 v1, v2, v1
	s_waitcnt lgkmcnt(0)
	v_add_u32_e32 v1, v62, v1
	ds_write_b32 v63, v1 offset:16
.LBB34_22:                              ;   in Loop: Header=BB34_6 Depth=2
	s_or_b64 exec, exec, s[34:35]
	; wave barrier
	s_waitcnt lgkmcnt(0)
	s_barrier
	ds_read2_b64 v[1:4], v24 offset0:2 offset1:3
	s_waitcnt lgkmcnt(0)
	v_add_u32_e32 v64, v2, v1
	v_add3_u32 v4, v64, v3, v4
	s_nop 1
	v_mov_b32_dpp v64, v4 row_shr:1 row_mask:0xf bank_mask:0xf
	v_cndmask_b32_e64 v64, v64, 0, s[2:3]
	v_add_u32_e32 v4, v64, v4
	s_nop 1
	v_mov_b32_dpp v64, v4 row_shr:2 row_mask:0xf bank_mask:0xf
	v_cndmask_b32_e64 v64, 0, v64, s[4:5]
	v_add_u32_e32 v4, v4, v64
	;; [unrolled: 4-line block ×4, first 2 shown]
	s_nop 1
	v_mov_b32_dpp v64, v4 row_bcast:15 row_mask:0xf bank_mask:0xf
	v_cndmask_b32_e64 v64, v64, 0, s[10:11]
	v_add_u32_e32 v4, v4, v64
	s_nop 1
	v_mov_b32_dpp v64, v4 row_bcast:31 row_mask:0xf bank_mask:0xf
	v_cndmask_b32_e64 v64, 0, v64, s[12:13]
	v_add_u32_e32 v4, v4, v64
	s_and_saveexec_b64 s[34:35], s[14:15]
; %bb.23:                               ;   in Loop: Header=BB34_6 Depth=2
	ds_write_b32 v26, v4
; %bb.24:                               ;   in Loop: Header=BB34_6 Depth=2
	s_or_b64 exec, exec, s[34:35]
	s_waitcnt lgkmcnt(0)
	s_barrier
	s_and_saveexec_b64 s[34:35], s[16:17]
	s_cbranch_execz .LBB34_26
; %bb.25:                               ;   in Loop: Header=BB34_6 Depth=2
	ds_read_b32 v64, v27
	s_waitcnt lgkmcnt(0)
	s_nop 0
	v_mov_b32_dpp v65, v64 row_shr:1 row_mask:0xf bank_mask:0xf
	v_cndmask_b32_e64 v65, v65, 0, s[26:27]
	v_add_u32_e32 v64, v65, v64
	s_nop 1
	v_mov_b32_dpp v65, v64 row_shr:2 row_mask:0xf bank_mask:0xf
	v_cndmask_b32_e64 v65, 0, v65, s[28:29]
	v_add_u32_e32 v64, v64, v65
	ds_write_b32 v27, v64
.LBB34_26:                              ;   in Loop: Header=BB34_6 Depth=2
	s_or_b64 exec, exec, s[34:35]
	v_mov_b32_e32 v64, 0
	s_waitcnt lgkmcnt(0)
	s_barrier
	s_and_saveexec_b64 s[34:35], s[18:19]
; %bb.27:                               ;   in Loop: Header=BB34_6 Depth=2
	ds_read_b32 v64, v28
; %bb.28:                               ;   in Loop: Header=BB34_6 Depth=2
	s_or_b64 exec, exec, s[34:35]
	s_waitcnt lgkmcnt(0)
	v_add_u32_e32 v4, v64, v4
	ds_bpermute_b32 v4, v25, v4
	v_cmp_lt_u32_e32 vcc, 23, v12
	s_and_b64 vcc, exec, vcc
	s_mov_b64 s[34:35], -1
	s_waitcnt lgkmcnt(0)
	v_cndmask_b32_e64 v4, v4, v64, s[20:21]
	v_cndmask_b32_e64 v64, v4, 0, s[22:23]
	v_add_u32_e32 v65, v64, v1
	v_add_u32_e32 v1, v65, v2
	;; [unrolled: 1-line block ×3, first 2 shown]
	ds_write2_b64 v24, v[64:65], v[1:2] offset0:2 offset1:3
	s_waitcnt lgkmcnt(0)
	s_barrier
	ds_read_b32 v1, v6 offset:16
	ds_read_b32 v2, v8 offset:16
	;; [unrolled: 1-line block ×8, first 2 shown]
	s_waitcnt lgkmcnt(7)
	v_add_u32_e32 v57, v1, v5
	s_waitcnt lgkmcnt(6)
	v_add3_u32 v54, v46, v7, v2
	s_waitcnt lgkmcnt(5)
	v_add3_u32 v51, v49, v47, v3
	;; [unrolled: 2-line block ×7, first 2 shown]
                                        ; implicit-def: $vgpr8
                                        ; implicit-def: $vgpr6
                                        ; implicit-def: $vgpr4
                                        ; implicit-def: $vgpr2
	s_cbranch_vccnz .LBB34_5
; %bb.29:                               ;   in Loop: Header=BB34_6 Depth=2
	v_lshlrev_b32_e32 v1, 2, v57
	s_barrier
	ds_write_b32 v1, v45
	v_lshlrev_b32_e32 v1, 2, v54
	ds_write_b32 v1, v44
	v_lshlrev_b32_e32 v1, 2, v51
	;; [unrolled: 2-line block ×7, first 2 shown]
	ds_write_b32 v1, v9
	s_waitcnt lgkmcnt(0)
	s_barrier
	ds_read2st64_b32 v[1:2], v23 offset1:1
	ds_read2st64_b32 v[3:4], v23 offset0:2 offset1:3
	ds_read2st64_b32 v[5:6], v23 offset0:4 offset1:5
	;; [unrolled: 1-line block ×3, first 2 shown]
	v_add_u32_e32 v12, 8, v12
	s_mov_b64 s[34:35], 0
	s_waitcnt lgkmcnt(0)
	s_barrier
	s_branch .LBB34_5
.LBB34_30:                              ;   in Loop: Header=BB34_2 Depth=1
	v_lshlrev_b32_e32 v1, 2, v57
	s_barrier
	ds_write_b32 v1, v45
	v_lshlrev_b32_e32 v1, 2, v54
	ds_write_b32 v1, v44
	v_lshlrev_b32_e32 v1, 2, v51
	;; [unrolled: 2-line block ×7, first 2 shown]
	ds_write_b32 v1, v9
	s_waitcnt lgkmcnt(0)
	s_barrier
	ds_read2_b64 v[1:4], v29 offset0:2 offset1:3
	ds_read2_b64 v[11:14], v29 offset1:1
	s_waitcnt lgkmcnt(0)
	s_barrier
	v_xor_b32_e32 v6, 0x80000000, v4
	v_xor_b32_e32 v5, 0x80000000, v3
	v_cmp_ne_u32_e32 vcc, v3, v4
	v_mov_b32_e32 v3, v6
	ds_write2st64_b32 v42, v40, v40 offset0:8 offset1:12
	s_waitcnt lgkmcnt(0)
	s_barrier
	ds_write_b32 v27, v6
	s_and_saveexec_b64 s[34:35], vcc
	s_cbranch_execz .LBB34_32
; %bb.31:                               ;   in Loop: Header=BB34_2 Depth=1
	v_lshlrev_b32_e32 v3, 2, v6
	v_lshlrev_b32_e32 v4, 2, v5
	ds_write_b32 v3, v31 offset:2048
	ds_write_b32 v4, v31 offset:3072
	v_mov_b32_e32 v3, v5
.LBB34_32:                              ;   in Loop: Header=BB34_2 Depth=1
	s_or_b64 exec, exec, s[34:35]
	v_xor_b32_e32 v4, 0x80000000, v2
	v_cmp_ne_u32_e32 vcc, v4, v3
	v_lshlrev_b32_e32 v7, 2, v4
	s_and_saveexec_b64 s[34:35], vcc
	s_cbranch_execz .LBB34_34
; %bb.33:                               ;   in Loop: Header=BB34_2 Depth=1
	v_lshlrev_b32_e32 v3, 2, v3
	ds_write_b32 v3, v32 offset:2048
	ds_write_b32 v7, v32 offset:3072
.LBB34_34:                              ;   in Loop: Header=BB34_2 Depth=1
	s_or_b64 exec, exec, s[34:35]
	v_xor_b32_e32 v3, 0x80000000, v1
	v_cmp_ne_u32_e32 vcc, v1, v2
	v_lshlrev_b32_e32 v8, 2, v3
	s_and_saveexec_b64 s[34:35], vcc
	s_cbranch_execz .LBB34_36
; %bb.35:                               ;   in Loop: Header=BB34_2 Depth=1
	ds_write_b32 v7, v33 offset:2048
	ds_write_b32 v8, v33 offset:3072
.LBB34_36:                              ;   in Loop: Header=BB34_2 Depth=1
	s_or_b64 exec, exec, s[34:35]
	v_xor_b32_e32 v10, 0x80000000, v14
	v_cmp_ne_u32_e32 vcc, v14, v1
	v_lshlrev_b32_e32 v2, 2, v10
	s_and_saveexec_b64 s[34:35], vcc
	s_cbranch_execz .LBB34_38
; %bb.37:                               ;   in Loop: Header=BB34_2 Depth=1
	ds_write_b32 v8, v34 offset:2048
	ds_write_b32 v2, v34 offset:3072
.LBB34_38:                              ;   in Loop: Header=BB34_2 Depth=1
	;; [unrolled: 10-line block ×5, first 2 shown]
	s_or_b64 exec, exec, s[34:35]
	s_waitcnt lgkmcnt(0)
	s_barrier
	s_and_saveexec_b64 s[34:35], s[24:25]
	s_cbranch_execz .LBB34_47
; %bb.45:                               ;   in Loop: Header=BB34_2 Depth=1
	ds_read_b32 v2, v38
	s_waitcnt lgkmcnt(0)
	v_cmp_ne_u32_e32 vcc, v2, v7
	s_and_b64 exec, exec, vcc
	s_cbranch_execz .LBB34_47
; %bb.46:                               ;   in Loop: Header=BB34_2 Depth=1
	ds_write_b32 v1, v21 offset:2048
	ds_read_b32 v2, v38
	s_waitcnt lgkmcnt(0)
	v_lshlrev_b32_e32 v2, 2, v2
	ds_write_b32 v2, v21 offset:3072
.LBB34_47:                              ;   in Loop: Header=BB34_2 Depth=1
	s_or_b64 exec, exec, s[34:35]
	s_waitcnt lgkmcnt(0)
	s_barrier
	s_and_saveexec_b64 s[34:35], s[22:23]
	s_cbranch_execz .LBB34_1
; %bb.48:                               ;   in Loop: Header=BB34_2 Depth=1
	ds_write_b32 v1, v15 offset:2048
	s_branch .LBB34_1
.LBB34_49:
	v_lshl_or_b32 v2, s6, 8, v0
	v_mov_b32_e32 v3, 0
	v_lshlrev_b64 v[2:3], 2, v[2:3]
	v_mov_b32_e32 v0, s39
	v_add_co_u32_e32 v2, vcc, s38, v2
	v_addc_co_u32_e32 v3, vcc, v0, v3, vcc
	global_store_dword v[2:3], v1, off
	s_endpgm
	.section	.rodata,"a",@progbits
	.p2align	6, 0x0
	.amdhsa_kernel _Z6kernelI9histogramILN6hipcub23BlockHistogramAlgorithmE1EEiLj256ELj8ELj256ELj100EEvPKT0_PS4_
		.amdhsa_group_segment_fixed_size 9216
		.amdhsa_private_segment_fixed_size 0
		.amdhsa_kernarg_size 272
		.amdhsa_user_sgpr_count 6
		.amdhsa_user_sgpr_private_segment_buffer 1
		.amdhsa_user_sgpr_dispatch_ptr 0
		.amdhsa_user_sgpr_queue_ptr 0
		.amdhsa_user_sgpr_kernarg_segment_ptr 1
		.amdhsa_user_sgpr_dispatch_id 0
		.amdhsa_user_sgpr_flat_scratch_init 0
		.amdhsa_user_sgpr_private_segment_size 0
		.amdhsa_uses_dynamic_stack 0
		.amdhsa_system_sgpr_private_segment_wavefront_offset 0
		.amdhsa_system_sgpr_workgroup_id_x 1
		.amdhsa_system_sgpr_workgroup_id_y 0
		.amdhsa_system_sgpr_workgroup_id_z 0
		.amdhsa_system_sgpr_workgroup_info 0
		.amdhsa_system_vgpr_workitem_id 2
		.amdhsa_next_free_vgpr 66
		.amdhsa_next_free_sgpr 77
		.amdhsa_reserve_vcc 1
		.amdhsa_reserve_flat_scratch 0
		.amdhsa_float_round_mode_32 0
		.amdhsa_float_round_mode_16_64 0
		.amdhsa_float_denorm_mode_32 3
		.amdhsa_float_denorm_mode_16_64 3
		.amdhsa_dx10_clamp 1
		.amdhsa_ieee_mode 1
		.amdhsa_fp16_overflow 0
		.amdhsa_exception_fp_ieee_invalid_op 0
		.amdhsa_exception_fp_denorm_src 0
		.amdhsa_exception_fp_ieee_div_zero 0
		.amdhsa_exception_fp_ieee_overflow 0
		.amdhsa_exception_fp_ieee_underflow 0
		.amdhsa_exception_fp_ieee_inexact 0
		.amdhsa_exception_int_div_zero 0
	.end_amdhsa_kernel
	.section	.text._Z6kernelI9histogramILN6hipcub23BlockHistogramAlgorithmE1EEiLj256ELj8ELj256ELj100EEvPKT0_PS4_,"axG",@progbits,_Z6kernelI9histogramILN6hipcub23BlockHistogramAlgorithmE1EEiLj256ELj8ELj256ELj100EEvPKT0_PS4_,comdat
.Lfunc_end34:
	.size	_Z6kernelI9histogramILN6hipcub23BlockHistogramAlgorithmE1EEiLj256ELj8ELj256ELj100EEvPKT0_PS4_, .Lfunc_end34-_Z6kernelI9histogramILN6hipcub23BlockHistogramAlgorithmE1EEiLj256ELj8ELj256ELj100EEvPKT0_PS4_
                                        ; -- End function
	.set _Z6kernelI9histogramILN6hipcub23BlockHistogramAlgorithmE1EEiLj256ELj8ELj256ELj100EEvPKT0_PS4_.num_vgpr, 66
	.set _Z6kernelI9histogramILN6hipcub23BlockHistogramAlgorithmE1EEiLj256ELj8ELj256ELj100EEvPKT0_PS4_.num_agpr, 0
	.set _Z6kernelI9histogramILN6hipcub23BlockHistogramAlgorithmE1EEiLj256ELj8ELj256ELj100EEvPKT0_PS4_.numbered_sgpr, 42
	.set _Z6kernelI9histogramILN6hipcub23BlockHistogramAlgorithmE1EEiLj256ELj8ELj256ELj100EEvPKT0_PS4_.num_named_barrier, 0
	.set _Z6kernelI9histogramILN6hipcub23BlockHistogramAlgorithmE1EEiLj256ELj8ELj256ELj100EEvPKT0_PS4_.private_seg_size, 0
	.set _Z6kernelI9histogramILN6hipcub23BlockHistogramAlgorithmE1EEiLj256ELj8ELj256ELj100EEvPKT0_PS4_.uses_vcc, 1
	.set _Z6kernelI9histogramILN6hipcub23BlockHistogramAlgorithmE1EEiLj256ELj8ELj256ELj100EEvPKT0_PS4_.uses_flat_scratch, 0
	.set _Z6kernelI9histogramILN6hipcub23BlockHistogramAlgorithmE1EEiLj256ELj8ELj256ELj100EEvPKT0_PS4_.has_dyn_sized_stack, 0
	.set _Z6kernelI9histogramILN6hipcub23BlockHistogramAlgorithmE1EEiLj256ELj8ELj256ELj100EEvPKT0_PS4_.has_recursion, 0
	.set _Z6kernelI9histogramILN6hipcub23BlockHistogramAlgorithmE1EEiLj256ELj8ELj256ELj100EEvPKT0_PS4_.has_indirect_call, 0
	.section	.AMDGPU.csdata,"",@progbits
; Kernel info:
; codeLenInByte = 4948
; TotalNumSgprs: 46
; NumVgprs: 66
; ScratchSize: 0
; MemoryBound: 0
; FloatMode: 240
; IeeeMode: 1
; LDSByteSize: 9216 bytes/workgroup (compile time only)
; SGPRBlocks: 10
; VGPRBlocks: 16
; NumSGPRsForWavesPerEU: 81
; NumVGPRsForWavesPerEU: 66
; Occupancy: 3
; WaveLimiterHint : 0
; COMPUTE_PGM_RSRC2:SCRATCH_EN: 0
; COMPUTE_PGM_RSRC2:USER_SGPR: 6
; COMPUTE_PGM_RSRC2:TRAP_HANDLER: 0
; COMPUTE_PGM_RSRC2:TGID_X_EN: 1
; COMPUTE_PGM_RSRC2:TGID_Y_EN: 0
; COMPUTE_PGM_RSRC2:TGID_Z_EN: 0
; COMPUTE_PGM_RSRC2:TIDIG_COMP_CNT: 2
	.section	.text._Z6kernelI9histogramILN6hipcub23BlockHistogramAlgorithmE1EEiLj256ELj16ELj256ELj100EEvPKT0_PS4_,"axG",@progbits,_Z6kernelI9histogramILN6hipcub23BlockHistogramAlgorithmE1EEiLj256ELj16ELj256ELj100EEvPKT0_PS4_,comdat
	.protected	_Z6kernelI9histogramILN6hipcub23BlockHistogramAlgorithmE1EEiLj256ELj16ELj256ELj100EEvPKT0_PS4_ ; -- Begin function _Z6kernelI9histogramILN6hipcub23BlockHistogramAlgorithmE1EEiLj256ELj16ELj256ELj100EEvPKT0_PS4_
	.globl	_Z6kernelI9histogramILN6hipcub23BlockHistogramAlgorithmE1EEiLj256ELj16ELj256ELj100EEvPKT0_PS4_
	.p2align	8
	.type	_Z6kernelI9histogramILN6hipcub23BlockHistogramAlgorithmE1EEiLj256ELj16ELj256ELj100EEvPKT0_PS4_,@function
_Z6kernelI9histogramILN6hipcub23BlockHistogramAlgorithmE1EEiLj256ELj16ELj256ELj100EEvPKT0_PS4_: ; @_Z6kernelI9histogramILN6hipcub23BlockHistogramAlgorithmE1EEiLj256ELj16ELj256ELj100EEvPKT0_PS4_
; %bb.0:
	s_load_dwordx4 s[36:39], s[4:5], 0x0
	s_load_dword s7, s[4:5], 0x1c
	v_lshlrev_b32_e32 v23, 4, v0
	v_mov_b32_e32 v17, 0
	v_lshl_or_b32 v3, s6, 12, v23
	v_mov_b32_e32 v4, v17
	v_lshlrev_b64 v[3:4], 2, v[3:4]
	s_waitcnt lgkmcnt(0)
	v_mov_b32_e32 v5, s37
	v_add_co_u32_e32 v7, vcc, s36, v3
	v_addc_co_u32_e32 v8, vcc, v5, v4, vcc
	global_load_dwordx4 v[3:6], v[7:8], off
	global_load_dwordx4 v[9:12], v[7:8], off offset:16
	global_load_dwordx4 v[18:21], v[7:8], off offset:32
	global_load_dwordx4 v[48:51], v[7:8], off offset:48
	s_lshr_b32 s33, s7, 16
	v_mbcnt_lo_u32_b32 v7, -1, 0
	s_and_b32 s7, s7, 0xffff
	v_mad_u32_u24 v1, v2, s33, v1
	v_mbcnt_hi_u32_b32 v7, -1, v7
	v_mad_u64_u32 v[52:53], s[34:35], v1, s7, v[0:1]
	v_mov_b32_e32 v8, 0x4000
	v_lshlrev_b32_e32 v14, 6, v0
	v_subrev_co_u32_e64 v22, s[12:13], 1, v7
	v_and_b32_e32 v44, 64, v7
	s_mov_b32 s36, 0
	v_and_b32_e32 v13, 0xc0, v0
	v_lshrrev_b32_e32 v15, 4, v0
	v_lshl_or_b32 v24, v0, 2, v8
	v_and_b32_e32 v8, 0x3000, v14
	v_cmp_lt_i32_e32 vcc, v22, v44
	v_add_lshl_u32 v25, v7, v13, 6
	v_and_b32_e32 v14, 15, v7
	v_and_b32_e32 v16, 16, v7
	v_cmp_lt_u32_e64 s[10:11], 31, v7
	v_and_b32_e32 v26, 12, v15
	v_mad_i32_i24 v27, v0, -12, v23
	v_and_b32_e32 v15, 3, v7
	v_lshl_or_b32 v43, v7, 2, v8
	v_cndmask_b32_e32 v7, v22, v7, vcc
	s_mov_b32 s34, s36
	s_movk_i32 s0, 0x100
	v_mul_i32_i24_e32 v54, 0xffffffc4, v0
	v_or_b32_e32 v13, 63, v13
	v_cmp_eq_u32_e64 s[22:23], 0, v16
	v_cmp_eq_u32_e64 s[26:27], 0, v15
	v_cmp_lt_u32_e64 s[28:29], 1, v15
	v_mad_u32_u24 v45, v0, 60, v27
	v_lshlrev_b32_e32 v47, 2, v7
	s_mov_b32 s37, s36
	s_mov_b32 s35, s36
	v_cmp_gt_u32_e64 s[0:1], s0, v0
	v_cmp_gt_u32_e64 s[2:3], 4, v0
	v_cmp_lt_u32_e64 s[4:5], 63, v0
	v_cmp_eq_u32_e64 s[30:31], 0, v0
	v_cmp_ne_u32_e64 s[8:9], 0, v0
	v_or_b32_e32 v28, 15, v23
	v_or_b32_e32 v29, 14, v23
	;; [unrolled: 1-line block ×15, first 2 shown]
	v_cmp_eq_u32_e64 s[14:15], 0, v14
	v_cmp_lt_u32_e64 s[16:17], 1, v14
	v_cmp_lt_u32_e64 s[18:19], 3, v14
	v_cmp_lt_u32_e64 s[20:21], 7, v14
	v_cmp_eq_u32_e64 s[24:25], v0, v13
	v_add_u32_e32 v44, -4, v26
	v_add_u32_e32 v46, -4, v27
	s_waitcnt vmcnt(3)
	v_xor_b32_e32 v15, 0x80000000, v5
	v_xor_b32_e32 v16, 0x80000000, v6
	s_waitcnt vmcnt(1)
	v_xor_b32_e32 v5, 0x80000000, v18
	v_xor_b32_e32 v6, 0x80000000, v19
	;; [unrolled: 1-line block ×4, first 2 shown]
	v_lshrrev_b32_e32 v18, 4, v52
	v_mov_b32_e32 v19, s36
	v_mov_b32_e32 v21, s34
	v_xor_b32_e32 v13, 0x80000000, v3
	v_xor_b32_e32 v14, 0x80000000, v4
	;; [unrolled: 1-line block ×6, first 2 shown]
	s_waitcnt vmcnt(0)
	v_xor_b32_e32 v1, 0x80000000, v48
	v_xor_b32_e32 v2, 0x80000000, v49
	;; [unrolled: 1-line block ×4, first 2 shown]
	v_and_b32_e32 v48, 0xffffffc, v18
	v_mov_b32_e32 v20, s37
	v_mov_b32_e32 v22, s35
	;; [unrolled: 1-line block ×4, first 2 shown]
	v_add_u32_e32 v51, v45, v54
	s_branch .LBB35_2
.LBB35_1:                               ;   in Loop: Header=BB35_2 Depth=1
	s_or_b64 exec, exec, s[34:35]
	s_waitcnt lgkmcnt(0)
	s_barrier
	ds_read2st64_b32 v[52:53], v51 offset0:8 offset1:12
	ds_read_b32 v18, v24
	s_add_i32 s36, s36, 1
	s_cmpk_lg_i32 s36, 0x64
	s_waitcnt lgkmcnt(1)
	v_sub_u32_e32 v52, v53, v52
	s_waitcnt lgkmcnt(0)
	v_add_u32_e32 v18, v52, v18
	ds_write_b32 v24, v18
	s_cbranch_scc0 .LBB35_81
.LBB35_2:                               ; =>This Loop Header: Depth=1
                                        ;     Child Loop BB35_6 Depth 2
	s_and_saveexec_b64 s[34:35], s[0:1]
; %bb.3:                                ;   in Loop: Header=BB35_2 Depth=1
	ds_write_b32 v24, v17
; %bb.4:                                ;   in Loop: Header=BB35_2 Depth=1
	s_or_b64 exec, exec, s[34:35]
	s_waitcnt lgkmcnt(0)
	s_barrier
	ds_write2_b64 v25, v[13:14], v[15:16] offset1:1
	ds_write2_b64 v25, v[9:10], v[11:12] offset0:2 offset1:3
	ds_write2_b64 v25, v[5:6], v[7:8] offset0:4 offset1:5
	;; [unrolled: 1-line block ×3, first 2 shown]
	; wave barrier
	ds_read2st64_b32 v[1:2], v43 offset1:1
	ds_read2st64_b32 v[3:4], v43 offset0:2 offset1:3
	ds_read2st64_b32 v[5:6], v43 offset0:4 offset1:5
	;; [unrolled: 1-line block ×7, first 2 shown]
	s_mov_b32 s7, 0
	s_waitcnt lgkmcnt(0)
	s_barrier
	; wave barrier
	s_barrier
	s_branch .LBB35_6
.LBB35_5:                               ;   in Loop: Header=BB35_6 Depth=2
	v_lshlrev_b32_e32 v1, 2, v83
	s_barrier
	ds_write_b32 v1, v67
	v_lshlrev_b32_e32 v1, 2, v95
	ds_write_b32 v1, v66
	v_lshlrev_b32_e32 v1, 2, v92
	;; [unrolled: 2-line block ×15, first 2 shown]
	ds_write_b32 v1, v52
	s_waitcnt lgkmcnt(0)
	s_barrier
	ds_read2st64_b32 v[1:2], v43 offset1:1
	ds_read2st64_b32 v[3:4], v43 offset0:2 offset1:3
	ds_read2st64_b32 v[5:6], v43 offset0:4 offset1:5
	;; [unrolled: 1-line block ×7, first 2 shown]
	s_add_i32 s7, s7, 8
	s_waitcnt lgkmcnt(0)
	s_barrier
	s_cbranch_execz .LBB35_46
.LBB35_6:                               ;   Parent Loop BB35_2 Depth=1
                                        ; =>  This Inner Loop Header: Depth=2
	v_mov_b32_e32 v67, v1
	v_lshrrev_b32_e32 v1, s7, v67
	v_mov_b32_e32 v66, v2
	v_and_b32_e32 v2, 1, v1
	v_mov_b32_e32 v64, v4
	v_add_co_u32_e32 v4, vcc, -1, v2
	v_mov_b32_e32 v63, v5
	v_addc_co_u32_e64 v5, s[34:35], 0, -1, vcc
	v_cmp_ne_u32_e32 vcc, 0, v2
	v_lshlrev_b32_e32 v18, 30, v1
	v_xor_b32_e32 v2, vcc_hi, v5
	v_xor_b32_e32 v4, vcc_lo, v4
	v_cmp_gt_i64_e32 vcc, 0, v[17:18]
	v_not_b32_e32 v5, v18
	v_ashrrev_i32_e32 v5, 31, v5
	v_mov_b32_e32 v62, v6
	v_and_b32_e32 v4, exec_lo, v4
	v_xor_b32_e32 v6, vcc_hi, v5
	v_xor_b32_e32 v5, vcc_lo, v5
	v_lshlrev_b32_e32 v18, 29, v1
	v_and_b32_e32 v4, v4, v5
	v_cmp_gt_i64_e32 vcc, 0, v[17:18]
	v_not_b32_e32 v5, v18
	v_and_b32_e32 v2, exec_hi, v2
	v_ashrrev_i32_e32 v5, 31, v5
	v_and_b32_e32 v2, v2, v6
	v_xor_b32_e32 v6, vcc_hi, v5
	v_xor_b32_e32 v5, vcc_lo, v5
	v_lshlrev_b32_e32 v18, 28, v1
	v_and_b32_e32 v4, v4, v5
	v_cmp_gt_i64_e32 vcc, 0, v[17:18]
	v_not_b32_e32 v5, v18
	v_ashrrev_i32_e32 v5, 31, v5
	v_and_b32_e32 v2, v2, v6
	v_xor_b32_e32 v6, vcc_hi, v5
	v_xor_b32_e32 v5, vcc_lo, v5
	v_lshlrev_b32_e32 v18, 27, v1
	v_and_b32_e32 v4, v4, v5
	v_cmp_gt_i64_e32 vcc, 0, v[17:18]
	v_not_b32_e32 v5, v18
	;; [unrolled: 8-line block ×4, first 2 shown]
	v_ashrrev_i32_e32 v5, 31, v5
	v_lshlrev_b32_e32 v18, 24, v1
	v_mov_b32_e32 v65, v3
	v_lshlrev_b32_sdwa v3, v50, v1 dst_sel:DWORD dst_unused:UNUSED_PAD src0_sel:DWORD src1_sel:BYTE_0
	v_and_b32_e32 v2, v2, v6
	v_xor_b32_e32 v6, vcc_hi, v5
	v_xor_b32_e32 v5, vcc_lo, v5
	v_cmp_gt_i64_e32 vcc, 0, v[17:18]
	v_not_b32_e32 v1, v18
	v_ashrrev_i32_e32 v1, 31, v1
	v_and_b32_e32 v4, v4, v5
	v_xor_b32_e32 v5, vcc_hi, v1
	v_xor_b32_e32 v1, vcc_lo, v1
	v_and_b32_e32 v2, v2, v6
	v_and_b32_e32 v1, v4, v1
	;; [unrolled: 1-line block ×3, first 2 shown]
	v_mbcnt_lo_u32_b32 v4, v1, 0
	v_mbcnt_hi_u32_b32 v5, v2, v4
	v_cmp_ne_u64_e32 vcc, 0, v[1:2]
	v_cmp_eq_u32_e64 s[34:35], 0, v5
	v_mov_b32_e32 v61, v7
	v_mov_b32_e32 v60, v8
	;; [unrolled: 1-line block ×10, first 2 shown]
	s_and_b64 s[40:41], vcc, s[34:35]
	v_add_u32_e32 v8, v48, v3
	ds_write2_b64 v23, v[19:20], v[21:22] offset0:2 offset1:3
	s_waitcnt lgkmcnt(0)
	s_barrier
	; wave barrier
	s_and_saveexec_b64 s[34:35], s[40:41]
; %bb.7:                                ;   in Loop: Header=BB35_6 Depth=2
	v_bcnt_u32_b32 v1, v1, 0
	v_bcnt_u32_b32 v1, v2, v1
	ds_write_b32 v8, v1 offset:16
; %bb.8:                                ;   in Loop: Header=BB35_6 Depth=2
	s_or_b64 exec, exec, s[34:35]
	v_lshrrev_b32_e32 v1, s7, v66
	v_lshlrev_b32_sdwa v2, v50, v1 dst_sel:DWORD dst_unused:UNUSED_PAD src0_sel:DWORD src1_sel:BYTE_0
	v_add_u32_e32 v7, v48, v2
	v_and_b32_e32 v2, 1, v1
	v_add_co_u32_e32 v3, vcc, -1, v2
	v_addc_co_u32_e64 v4, s[34:35], 0, -1, vcc
	v_cmp_ne_u32_e32 vcc, 0, v2
	v_lshlrev_b32_e32 v18, 30, v1
	v_xor_b32_e32 v2, vcc_hi, v4
	v_xor_b32_e32 v3, vcc_lo, v3
	v_cmp_gt_i64_e32 vcc, 0, v[17:18]
	v_not_b32_e32 v4, v18
	v_ashrrev_i32_e32 v4, 31, v4
	v_and_b32_e32 v3, exec_lo, v3
	v_xor_b32_e32 v9, vcc_hi, v4
	v_xor_b32_e32 v4, vcc_lo, v4
	v_lshlrev_b32_e32 v18, 29, v1
	v_and_b32_e32 v3, v3, v4
	v_cmp_gt_i64_e32 vcc, 0, v[17:18]
	v_not_b32_e32 v4, v18
	v_and_b32_e32 v2, exec_hi, v2
	v_ashrrev_i32_e32 v4, 31, v4
	v_and_b32_e32 v2, v2, v9
	v_xor_b32_e32 v9, vcc_hi, v4
	v_xor_b32_e32 v4, vcc_lo, v4
	v_lshlrev_b32_e32 v18, 28, v1
	v_and_b32_e32 v3, v3, v4
	v_cmp_gt_i64_e32 vcc, 0, v[17:18]
	v_not_b32_e32 v4, v18
	v_ashrrev_i32_e32 v4, 31, v4
	v_and_b32_e32 v2, v2, v9
	v_xor_b32_e32 v9, vcc_hi, v4
	v_xor_b32_e32 v4, vcc_lo, v4
	v_lshlrev_b32_e32 v18, 27, v1
	v_and_b32_e32 v3, v3, v4
	v_cmp_gt_i64_e32 vcc, 0, v[17:18]
	v_not_b32_e32 v4, v18
	;; [unrolled: 8-line block ×4, first 2 shown]
	v_ashrrev_i32_e32 v4, 31, v4
	v_lshlrev_b32_e32 v18, 24, v1
	v_and_b32_e32 v2, v2, v9
	v_xor_b32_e32 v9, vcc_hi, v4
	v_xor_b32_e32 v4, vcc_lo, v4
	v_cmp_gt_i64_e32 vcc, 0, v[17:18]
	v_not_b32_e32 v1, v18
	v_ashrrev_i32_e32 v1, 31, v1
	v_and_b32_e32 v3, v3, v4
	v_xor_b32_e32 v4, vcc_hi, v1
	v_xor_b32_e32 v1, vcc_lo, v1
	; wave barrier
	ds_read_b32 v6, v7 offset:16
	v_and_b32_e32 v2, v2, v9
	v_and_b32_e32 v1, v3, v1
	;; [unrolled: 1-line block ×3, first 2 shown]
	v_mbcnt_lo_u32_b32 v3, v1, 0
	v_mbcnt_hi_u32_b32 v9, v2, v3
	v_cmp_ne_u64_e32 vcc, 0, v[1:2]
	v_cmp_eq_u32_e64 s[34:35], 0, v9
	s_and_b64 s[40:41], vcc, s[34:35]
	; wave barrier
	s_and_saveexec_b64 s[34:35], s[40:41]
	s_cbranch_execz .LBB35_10
; %bb.9:                                ;   in Loop: Header=BB35_6 Depth=2
	v_bcnt_u32_b32 v1, v1, 0
	v_bcnt_u32_b32 v1, v2, v1
	s_waitcnt lgkmcnt(0)
	v_add_u32_e32 v1, v6, v1
	ds_write_b32 v7, v1 offset:16
.LBB35_10:                              ;   in Loop: Header=BB35_6 Depth=2
	s_or_b64 exec, exec, s[34:35]
	v_lshrrev_b32_e32 v1, s7, v65
	v_lshlrev_b32_sdwa v2, v50, v1 dst_sel:DWORD dst_unused:UNUSED_PAD src0_sel:DWORD src1_sel:BYTE_0
	v_add_u32_e32 v11, v48, v2
	v_and_b32_e32 v2, 1, v1
	v_add_co_u32_e32 v3, vcc, -1, v2
	v_addc_co_u32_e64 v4, s[34:35], 0, -1, vcc
	v_cmp_ne_u32_e32 vcc, 0, v2
	v_lshlrev_b32_e32 v18, 30, v1
	v_xor_b32_e32 v2, vcc_hi, v4
	v_xor_b32_e32 v3, vcc_lo, v3
	v_cmp_gt_i64_e32 vcc, 0, v[17:18]
	v_not_b32_e32 v4, v18
	v_ashrrev_i32_e32 v4, 31, v4
	v_and_b32_e32 v3, exec_lo, v3
	v_xor_b32_e32 v12, vcc_hi, v4
	v_xor_b32_e32 v4, vcc_lo, v4
	v_lshlrev_b32_e32 v18, 29, v1
	v_and_b32_e32 v3, v3, v4
	v_cmp_gt_i64_e32 vcc, 0, v[17:18]
	v_not_b32_e32 v4, v18
	v_and_b32_e32 v2, exec_hi, v2
	v_ashrrev_i32_e32 v4, 31, v4
	v_and_b32_e32 v2, v2, v12
	v_xor_b32_e32 v12, vcc_hi, v4
	v_xor_b32_e32 v4, vcc_lo, v4
	v_lshlrev_b32_e32 v18, 28, v1
	v_and_b32_e32 v3, v3, v4
	v_cmp_gt_i64_e32 vcc, 0, v[17:18]
	v_not_b32_e32 v4, v18
	v_ashrrev_i32_e32 v4, 31, v4
	v_and_b32_e32 v2, v2, v12
	v_xor_b32_e32 v12, vcc_hi, v4
	v_xor_b32_e32 v4, vcc_lo, v4
	v_lshlrev_b32_e32 v18, 27, v1
	v_and_b32_e32 v3, v3, v4
	v_cmp_gt_i64_e32 vcc, 0, v[17:18]
	v_not_b32_e32 v4, v18
	;; [unrolled: 8-line block ×4, first 2 shown]
	v_ashrrev_i32_e32 v4, 31, v4
	v_lshlrev_b32_e32 v18, 24, v1
	v_and_b32_e32 v2, v2, v12
	v_xor_b32_e32 v12, vcc_hi, v4
	v_xor_b32_e32 v4, vcc_lo, v4
	v_cmp_gt_i64_e32 vcc, 0, v[17:18]
	v_not_b32_e32 v1, v18
	v_ashrrev_i32_e32 v1, 31, v1
	v_and_b32_e32 v3, v3, v4
	v_xor_b32_e32 v4, vcc_hi, v1
	v_xor_b32_e32 v1, vcc_lo, v1
	; wave barrier
	ds_read_b32 v10, v11 offset:16
	v_and_b32_e32 v2, v2, v12
	v_and_b32_e32 v1, v3, v1
	;; [unrolled: 1-line block ×3, first 2 shown]
	v_mbcnt_lo_u32_b32 v3, v1, 0
	v_mbcnt_hi_u32_b32 v12, v2, v3
	v_cmp_ne_u64_e32 vcc, 0, v[1:2]
	v_cmp_eq_u32_e64 s[34:35], 0, v12
	s_and_b64 s[40:41], vcc, s[34:35]
	; wave barrier
	s_and_saveexec_b64 s[34:35], s[40:41]
	s_cbranch_execz .LBB35_12
; %bb.11:                               ;   in Loop: Header=BB35_6 Depth=2
	v_bcnt_u32_b32 v1, v1, 0
	v_bcnt_u32_b32 v1, v2, v1
	s_waitcnt lgkmcnt(0)
	v_add_u32_e32 v1, v10, v1
	ds_write_b32 v11, v1 offset:16
.LBB35_12:                              ;   in Loop: Header=BB35_6 Depth=2
	s_or_b64 exec, exec, s[34:35]
	v_lshrrev_b32_e32 v1, s7, v64
	v_lshlrev_b32_sdwa v2, v50, v1 dst_sel:DWORD dst_unused:UNUSED_PAD src0_sel:DWORD src1_sel:BYTE_0
	v_add_u32_e32 v14, v48, v2
	v_and_b32_e32 v2, 1, v1
	v_add_co_u32_e32 v3, vcc, -1, v2
	v_addc_co_u32_e64 v4, s[34:35], 0, -1, vcc
	v_cmp_ne_u32_e32 vcc, 0, v2
	v_lshlrev_b32_e32 v18, 30, v1
	v_xor_b32_e32 v2, vcc_hi, v4
	v_xor_b32_e32 v3, vcc_lo, v3
	v_cmp_gt_i64_e32 vcc, 0, v[17:18]
	v_not_b32_e32 v4, v18
	v_ashrrev_i32_e32 v4, 31, v4
	v_and_b32_e32 v3, exec_lo, v3
	v_xor_b32_e32 v15, vcc_hi, v4
	v_xor_b32_e32 v4, vcc_lo, v4
	v_lshlrev_b32_e32 v18, 29, v1
	v_and_b32_e32 v3, v3, v4
	v_cmp_gt_i64_e32 vcc, 0, v[17:18]
	v_not_b32_e32 v4, v18
	v_and_b32_e32 v2, exec_hi, v2
	v_ashrrev_i32_e32 v4, 31, v4
	v_and_b32_e32 v2, v2, v15
	v_xor_b32_e32 v15, vcc_hi, v4
	v_xor_b32_e32 v4, vcc_lo, v4
	v_lshlrev_b32_e32 v18, 28, v1
	v_and_b32_e32 v3, v3, v4
	v_cmp_gt_i64_e32 vcc, 0, v[17:18]
	v_not_b32_e32 v4, v18
	v_ashrrev_i32_e32 v4, 31, v4
	v_and_b32_e32 v2, v2, v15
	v_xor_b32_e32 v15, vcc_hi, v4
	v_xor_b32_e32 v4, vcc_lo, v4
	v_lshlrev_b32_e32 v18, 27, v1
	v_and_b32_e32 v3, v3, v4
	v_cmp_gt_i64_e32 vcc, 0, v[17:18]
	v_not_b32_e32 v4, v18
	;; [unrolled: 8-line block ×4, first 2 shown]
	v_ashrrev_i32_e32 v4, 31, v4
	v_lshlrev_b32_e32 v18, 24, v1
	v_and_b32_e32 v2, v2, v15
	v_xor_b32_e32 v15, vcc_hi, v4
	v_xor_b32_e32 v4, vcc_lo, v4
	v_cmp_gt_i64_e32 vcc, 0, v[17:18]
	v_not_b32_e32 v1, v18
	v_ashrrev_i32_e32 v1, 31, v1
	v_and_b32_e32 v3, v3, v4
	v_xor_b32_e32 v4, vcc_hi, v1
	v_xor_b32_e32 v1, vcc_lo, v1
	; wave barrier
	ds_read_b32 v13, v14 offset:16
	v_and_b32_e32 v2, v2, v15
	v_and_b32_e32 v1, v3, v1
	;; [unrolled: 1-line block ×3, first 2 shown]
	v_mbcnt_lo_u32_b32 v3, v1, 0
	v_mbcnt_hi_u32_b32 v15, v2, v3
	v_cmp_ne_u64_e32 vcc, 0, v[1:2]
	v_cmp_eq_u32_e64 s[34:35], 0, v15
	s_and_b64 s[40:41], vcc, s[34:35]
	; wave barrier
	s_and_saveexec_b64 s[34:35], s[40:41]
	s_cbranch_execz .LBB35_14
; %bb.13:                               ;   in Loop: Header=BB35_6 Depth=2
	v_bcnt_u32_b32 v1, v1, 0
	v_bcnt_u32_b32 v1, v2, v1
	s_waitcnt lgkmcnt(0)
	v_add_u32_e32 v1, v13, v1
	ds_write_b32 v14, v1 offset:16
.LBB35_14:                              ;   in Loop: Header=BB35_6 Depth=2
	s_or_b64 exec, exec, s[34:35]
	v_lshrrev_b32_e32 v1, s7, v63
	v_lshlrev_b32_sdwa v2, v50, v1 dst_sel:DWORD dst_unused:UNUSED_PAD src0_sel:DWORD src1_sel:BYTE_0
	v_add_u32_e32 v68, v48, v2
	v_and_b32_e32 v2, 1, v1
	v_add_co_u32_e32 v3, vcc, -1, v2
	v_addc_co_u32_e64 v4, s[34:35], 0, -1, vcc
	v_cmp_ne_u32_e32 vcc, 0, v2
	v_lshlrev_b32_e32 v18, 30, v1
	v_xor_b32_e32 v2, vcc_hi, v4
	v_xor_b32_e32 v3, vcc_lo, v3
	v_cmp_gt_i64_e32 vcc, 0, v[17:18]
	v_not_b32_e32 v4, v18
	v_ashrrev_i32_e32 v4, 31, v4
	v_and_b32_e32 v2, exec_hi, v2
	v_xor_b32_e32 v18, vcc_hi, v4
	v_and_b32_e32 v3, exec_lo, v3
	v_xor_b32_e32 v4, vcc_lo, v4
	v_and_b32_e32 v2, v2, v18
	v_lshlrev_b32_e32 v18, 29, v1
	v_and_b32_e32 v3, v3, v4
	v_cmp_gt_i64_e32 vcc, 0, v[17:18]
	v_not_b32_e32 v4, v18
	v_ashrrev_i32_e32 v4, 31, v4
	v_xor_b32_e32 v18, vcc_hi, v4
	v_xor_b32_e32 v4, vcc_lo, v4
	v_and_b32_e32 v2, v2, v18
	v_lshlrev_b32_e32 v18, 28, v1
	v_and_b32_e32 v3, v3, v4
	v_cmp_gt_i64_e32 vcc, 0, v[17:18]
	v_not_b32_e32 v4, v18
	v_ashrrev_i32_e32 v4, 31, v4
	v_xor_b32_e32 v18, vcc_hi, v4
	;; [unrolled: 8-line block ×5, first 2 shown]
	v_and_b32_e32 v2, v2, v18
	v_lshlrev_b32_e32 v18, 24, v1
	v_xor_b32_e32 v4, vcc_lo, v4
	v_cmp_gt_i64_e32 vcc, 0, v[17:18]
	v_not_b32_e32 v1, v18
	v_ashrrev_i32_e32 v1, 31, v1
	v_and_b32_e32 v3, v3, v4
	v_xor_b32_e32 v4, vcc_hi, v1
	v_xor_b32_e32 v1, vcc_lo, v1
	; wave barrier
	ds_read_b32 v16, v68 offset:16
	v_and_b32_e32 v1, v3, v1
	v_and_b32_e32 v2, v2, v4
	v_mbcnt_lo_u32_b32 v3, v1, 0
	v_mbcnt_hi_u32_b32 v69, v2, v3
	v_cmp_ne_u64_e32 vcc, 0, v[1:2]
	v_cmp_eq_u32_e64 s[34:35], 0, v69
	s_and_b64 s[40:41], vcc, s[34:35]
	; wave barrier
	s_and_saveexec_b64 s[34:35], s[40:41]
	s_cbranch_execz .LBB35_16
; %bb.15:                               ;   in Loop: Header=BB35_6 Depth=2
	v_bcnt_u32_b32 v1, v1, 0
	v_bcnt_u32_b32 v1, v2, v1
	s_waitcnt lgkmcnt(0)
	v_add_u32_e32 v1, v16, v1
	ds_write_b32 v68, v1 offset:16
.LBB35_16:                              ;   in Loop: Header=BB35_6 Depth=2
	s_or_b64 exec, exec, s[34:35]
	v_lshrrev_b32_e32 v1, s7, v62
	v_lshlrev_b32_sdwa v2, v50, v1 dst_sel:DWORD dst_unused:UNUSED_PAD src0_sel:DWORD src1_sel:BYTE_0
	v_add_u32_e32 v71, v48, v2
	v_and_b32_e32 v2, 1, v1
	v_add_co_u32_e32 v3, vcc, -1, v2
	v_addc_co_u32_e64 v4, s[34:35], 0, -1, vcc
	v_cmp_ne_u32_e32 vcc, 0, v2
	v_lshlrev_b32_e32 v18, 30, v1
	v_xor_b32_e32 v2, vcc_hi, v4
	v_xor_b32_e32 v3, vcc_lo, v3
	v_cmp_gt_i64_e32 vcc, 0, v[17:18]
	v_not_b32_e32 v4, v18
	v_ashrrev_i32_e32 v4, 31, v4
	v_and_b32_e32 v2, exec_hi, v2
	v_xor_b32_e32 v18, vcc_hi, v4
	v_and_b32_e32 v3, exec_lo, v3
	v_xor_b32_e32 v4, vcc_lo, v4
	v_and_b32_e32 v2, v2, v18
	v_lshlrev_b32_e32 v18, 29, v1
	v_and_b32_e32 v3, v3, v4
	v_cmp_gt_i64_e32 vcc, 0, v[17:18]
	v_not_b32_e32 v4, v18
	v_ashrrev_i32_e32 v4, 31, v4
	v_xor_b32_e32 v18, vcc_hi, v4
	v_xor_b32_e32 v4, vcc_lo, v4
	v_and_b32_e32 v2, v2, v18
	v_lshlrev_b32_e32 v18, 28, v1
	v_and_b32_e32 v3, v3, v4
	v_cmp_gt_i64_e32 vcc, 0, v[17:18]
	v_not_b32_e32 v4, v18
	v_ashrrev_i32_e32 v4, 31, v4
	v_xor_b32_e32 v18, vcc_hi, v4
	;; [unrolled: 8-line block ×5, first 2 shown]
	v_and_b32_e32 v2, v2, v18
	v_lshlrev_b32_e32 v18, 24, v1
	v_xor_b32_e32 v4, vcc_lo, v4
	v_cmp_gt_i64_e32 vcc, 0, v[17:18]
	v_not_b32_e32 v1, v18
	v_ashrrev_i32_e32 v1, 31, v1
	v_and_b32_e32 v3, v3, v4
	v_xor_b32_e32 v4, vcc_hi, v1
	v_xor_b32_e32 v1, vcc_lo, v1
	; wave barrier
	ds_read_b32 v70, v71 offset:16
	v_and_b32_e32 v1, v3, v1
	v_and_b32_e32 v2, v2, v4
	v_mbcnt_lo_u32_b32 v3, v1, 0
	v_mbcnt_hi_u32_b32 v72, v2, v3
	v_cmp_ne_u64_e32 vcc, 0, v[1:2]
	v_cmp_eq_u32_e64 s[34:35], 0, v72
	s_and_b64 s[40:41], vcc, s[34:35]
	; wave barrier
	s_and_saveexec_b64 s[34:35], s[40:41]
	s_cbranch_execz .LBB35_18
; %bb.17:                               ;   in Loop: Header=BB35_6 Depth=2
	v_bcnt_u32_b32 v1, v1, 0
	v_bcnt_u32_b32 v1, v2, v1
	s_waitcnt lgkmcnt(0)
	v_add_u32_e32 v1, v70, v1
	ds_write_b32 v71, v1 offset:16
.LBB35_18:                              ;   in Loop: Header=BB35_6 Depth=2
	s_or_b64 exec, exec, s[34:35]
	v_lshrrev_b32_e32 v1, s7, v61
	v_lshlrev_b32_sdwa v2, v50, v1 dst_sel:DWORD dst_unused:UNUSED_PAD src0_sel:DWORD src1_sel:BYTE_0
	v_add_u32_e32 v74, v48, v2
	v_and_b32_e32 v2, 1, v1
	v_add_co_u32_e32 v3, vcc, -1, v2
	v_addc_co_u32_e64 v4, s[34:35], 0, -1, vcc
	v_cmp_ne_u32_e32 vcc, 0, v2
	v_lshlrev_b32_e32 v18, 30, v1
	v_xor_b32_e32 v2, vcc_hi, v4
	v_xor_b32_e32 v3, vcc_lo, v3
	v_cmp_gt_i64_e32 vcc, 0, v[17:18]
	v_not_b32_e32 v4, v18
	v_ashrrev_i32_e32 v4, 31, v4
	v_and_b32_e32 v2, exec_hi, v2
	v_xor_b32_e32 v18, vcc_hi, v4
	v_and_b32_e32 v3, exec_lo, v3
	v_xor_b32_e32 v4, vcc_lo, v4
	v_and_b32_e32 v2, v2, v18
	v_lshlrev_b32_e32 v18, 29, v1
	v_and_b32_e32 v3, v3, v4
	v_cmp_gt_i64_e32 vcc, 0, v[17:18]
	v_not_b32_e32 v4, v18
	v_ashrrev_i32_e32 v4, 31, v4
	v_xor_b32_e32 v18, vcc_hi, v4
	v_xor_b32_e32 v4, vcc_lo, v4
	v_and_b32_e32 v2, v2, v18
	v_lshlrev_b32_e32 v18, 28, v1
	v_and_b32_e32 v3, v3, v4
	v_cmp_gt_i64_e32 vcc, 0, v[17:18]
	v_not_b32_e32 v4, v18
	v_ashrrev_i32_e32 v4, 31, v4
	v_xor_b32_e32 v18, vcc_hi, v4
	;; [unrolled: 8-line block ×5, first 2 shown]
	v_and_b32_e32 v2, v2, v18
	v_lshlrev_b32_e32 v18, 24, v1
	v_xor_b32_e32 v4, vcc_lo, v4
	v_cmp_gt_i64_e32 vcc, 0, v[17:18]
	v_not_b32_e32 v1, v18
	v_ashrrev_i32_e32 v1, 31, v1
	v_and_b32_e32 v3, v3, v4
	v_xor_b32_e32 v4, vcc_hi, v1
	v_xor_b32_e32 v1, vcc_lo, v1
	; wave barrier
	ds_read_b32 v73, v74 offset:16
	v_and_b32_e32 v1, v3, v1
	v_and_b32_e32 v2, v2, v4
	v_mbcnt_lo_u32_b32 v3, v1, 0
	v_mbcnt_hi_u32_b32 v75, v2, v3
	v_cmp_ne_u64_e32 vcc, 0, v[1:2]
	v_cmp_eq_u32_e64 s[34:35], 0, v75
	s_and_b64 s[40:41], vcc, s[34:35]
	; wave barrier
	s_and_saveexec_b64 s[34:35], s[40:41]
	s_cbranch_execz .LBB35_20
; %bb.19:                               ;   in Loop: Header=BB35_6 Depth=2
	v_bcnt_u32_b32 v1, v1, 0
	v_bcnt_u32_b32 v1, v2, v1
	s_waitcnt lgkmcnt(0)
	v_add_u32_e32 v1, v73, v1
	ds_write_b32 v74, v1 offset:16
.LBB35_20:                              ;   in Loop: Header=BB35_6 Depth=2
	s_or_b64 exec, exec, s[34:35]
	v_lshrrev_b32_e32 v1, s7, v60
	v_lshlrev_b32_sdwa v2, v50, v1 dst_sel:DWORD dst_unused:UNUSED_PAD src0_sel:DWORD src1_sel:BYTE_0
	v_add_u32_e32 v77, v48, v2
	v_and_b32_e32 v2, 1, v1
	v_add_co_u32_e32 v3, vcc, -1, v2
	v_addc_co_u32_e64 v4, s[34:35], 0, -1, vcc
	v_cmp_ne_u32_e32 vcc, 0, v2
	v_lshlrev_b32_e32 v18, 30, v1
	v_xor_b32_e32 v2, vcc_hi, v4
	v_xor_b32_e32 v3, vcc_lo, v3
	v_cmp_gt_i64_e32 vcc, 0, v[17:18]
	v_not_b32_e32 v4, v18
	v_ashrrev_i32_e32 v4, 31, v4
	v_and_b32_e32 v2, exec_hi, v2
	v_xor_b32_e32 v18, vcc_hi, v4
	v_and_b32_e32 v3, exec_lo, v3
	v_xor_b32_e32 v4, vcc_lo, v4
	v_and_b32_e32 v2, v2, v18
	v_lshlrev_b32_e32 v18, 29, v1
	v_and_b32_e32 v3, v3, v4
	v_cmp_gt_i64_e32 vcc, 0, v[17:18]
	v_not_b32_e32 v4, v18
	v_ashrrev_i32_e32 v4, 31, v4
	v_xor_b32_e32 v18, vcc_hi, v4
	v_xor_b32_e32 v4, vcc_lo, v4
	v_and_b32_e32 v2, v2, v18
	v_lshlrev_b32_e32 v18, 28, v1
	v_and_b32_e32 v3, v3, v4
	v_cmp_gt_i64_e32 vcc, 0, v[17:18]
	v_not_b32_e32 v4, v18
	v_ashrrev_i32_e32 v4, 31, v4
	v_xor_b32_e32 v18, vcc_hi, v4
	;; [unrolled: 8-line block ×5, first 2 shown]
	v_and_b32_e32 v2, v2, v18
	v_lshlrev_b32_e32 v18, 24, v1
	v_xor_b32_e32 v4, vcc_lo, v4
	v_cmp_gt_i64_e32 vcc, 0, v[17:18]
	v_not_b32_e32 v1, v18
	v_ashrrev_i32_e32 v1, 31, v1
	v_and_b32_e32 v3, v3, v4
	v_xor_b32_e32 v4, vcc_hi, v1
	v_xor_b32_e32 v1, vcc_lo, v1
	; wave barrier
	ds_read_b32 v76, v77 offset:16
	v_and_b32_e32 v1, v3, v1
	v_and_b32_e32 v2, v2, v4
	v_mbcnt_lo_u32_b32 v3, v1, 0
	v_mbcnt_hi_u32_b32 v78, v2, v3
	v_cmp_ne_u64_e32 vcc, 0, v[1:2]
	v_cmp_eq_u32_e64 s[34:35], 0, v78
	s_and_b64 s[40:41], vcc, s[34:35]
	; wave barrier
	s_and_saveexec_b64 s[34:35], s[40:41]
	s_cbranch_execz .LBB35_22
; %bb.21:                               ;   in Loop: Header=BB35_6 Depth=2
	v_bcnt_u32_b32 v1, v1, 0
	v_bcnt_u32_b32 v1, v2, v1
	s_waitcnt lgkmcnt(0)
	v_add_u32_e32 v1, v76, v1
	ds_write_b32 v77, v1 offset:16
.LBB35_22:                              ;   in Loop: Header=BB35_6 Depth=2
	s_or_b64 exec, exec, s[34:35]
	v_lshrrev_b32_e32 v1, s7, v59
	v_lshlrev_b32_sdwa v2, v50, v1 dst_sel:DWORD dst_unused:UNUSED_PAD src0_sel:DWORD src1_sel:BYTE_0
	v_add_u32_e32 v80, v48, v2
	v_and_b32_e32 v2, 1, v1
	v_add_co_u32_e32 v3, vcc, -1, v2
	v_addc_co_u32_e64 v4, s[34:35], 0, -1, vcc
	v_cmp_ne_u32_e32 vcc, 0, v2
	v_lshlrev_b32_e32 v18, 30, v1
	v_xor_b32_e32 v2, vcc_hi, v4
	v_xor_b32_e32 v3, vcc_lo, v3
	v_cmp_gt_i64_e32 vcc, 0, v[17:18]
	v_not_b32_e32 v4, v18
	v_ashrrev_i32_e32 v4, 31, v4
	v_and_b32_e32 v2, exec_hi, v2
	v_xor_b32_e32 v18, vcc_hi, v4
	v_and_b32_e32 v3, exec_lo, v3
	v_xor_b32_e32 v4, vcc_lo, v4
	v_and_b32_e32 v2, v2, v18
	v_lshlrev_b32_e32 v18, 29, v1
	v_and_b32_e32 v3, v3, v4
	v_cmp_gt_i64_e32 vcc, 0, v[17:18]
	v_not_b32_e32 v4, v18
	v_ashrrev_i32_e32 v4, 31, v4
	v_xor_b32_e32 v18, vcc_hi, v4
	v_xor_b32_e32 v4, vcc_lo, v4
	v_and_b32_e32 v2, v2, v18
	v_lshlrev_b32_e32 v18, 28, v1
	v_and_b32_e32 v3, v3, v4
	v_cmp_gt_i64_e32 vcc, 0, v[17:18]
	v_not_b32_e32 v4, v18
	v_ashrrev_i32_e32 v4, 31, v4
	v_xor_b32_e32 v18, vcc_hi, v4
	;; [unrolled: 8-line block ×5, first 2 shown]
	v_and_b32_e32 v2, v2, v18
	v_lshlrev_b32_e32 v18, 24, v1
	v_xor_b32_e32 v4, vcc_lo, v4
	v_cmp_gt_i64_e32 vcc, 0, v[17:18]
	v_not_b32_e32 v1, v18
	v_ashrrev_i32_e32 v1, 31, v1
	v_and_b32_e32 v3, v3, v4
	v_xor_b32_e32 v4, vcc_hi, v1
	v_xor_b32_e32 v1, vcc_lo, v1
	; wave barrier
	ds_read_b32 v79, v80 offset:16
	v_and_b32_e32 v1, v3, v1
	v_and_b32_e32 v2, v2, v4
	v_mbcnt_lo_u32_b32 v3, v1, 0
	v_mbcnt_hi_u32_b32 v81, v2, v3
	v_cmp_ne_u64_e32 vcc, 0, v[1:2]
	v_cmp_eq_u32_e64 s[34:35], 0, v81
	s_and_b64 s[40:41], vcc, s[34:35]
	; wave barrier
	s_and_saveexec_b64 s[34:35], s[40:41]
	s_cbranch_execz .LBB35_24
; %bb.23:                               ;   in Loop: Header=BB35_6 Depth=2
	v_bcnt_u32_b32 v1, v1, 0
	v_bcnt_u32_b32 v1, v2, v1
	s_waitcnt lgkmcnt(0)
	v_add_u32_e32 v1, v79, v1
	ds_write_b32 v80, v1 offset:16
.LBB35_24:                              ;   in Loop: Header=BB35_6 Depth=2
	s_or_b64 exec, exec, s[34:35]
	v_lshrrev_b32_e32 v1, s7, v58
	v_lshlrev_b32_sdwa v2, v50, v1 dst_sel:DWORD dst_unused:UNUSED_PAD src0_sel:DWORD src1_sel:BYTE_0
	v_add_u32_e32 v83, v48, v2
	v_and_b32_e32 v2, 1, v1
	v_add_co_u32_e32 v3, vcc, -1, v2
	v_addc_co_u32_e64 v4, s[34:35], 0, -1, vcc
	v_cmp_ne_u32_e32 vcc, 0, v2
	v_lshlrev_b32_e32 v18, 30, v1
	v_xor_b32_e32 v2, vcc_hi, v4
	v_xor_b32_e32 v3, vcc_lo, v3
	v_cmp_gt_i64_e32 vcc, 0, v[17:18]
	v_not_b32_e32 v4, v18
	v_ashrrev_i32_e32 v4, 31, v4
	v_and_b32_e32 v2, exec_hi, v2
	v_xor_b32_e32 v18, vcc_hi, v4
	v_and_b32_e32 v3, exec_lo, v3
	v_xor_b32_e32 v4, vcc_lo, v4
	v_and_b32_e32 v2, v2, v18
	v_lshlrev_b32_e32 v18, 29, v1
	v_and_b32_e32 v3, v3, v4
	v_cmp_gt_i64_e32 vcc, 0, v[17:18]
	v_not_b32_e32 v4, v18
	v_ashrrev_i32_e32 v4, 31, v4
	v_xor_b32_e32 v18, vcc_hi, v4
	v_xor_b32_e32 v4, vcc_lo, v4
	v_and_b32_e32 v2, v2, v18
	v_lshlrev_b32_e32 v18, 28, v1
	v_and_b32_e32 v3, v3, v4
	v_cmp_gt_i64_e32 vcc, 0, v[17:18]
	v_not_b32_e32 v4, v18
	v_ashrrev_i32_e32 v4, 31, v4
	v_xor_b32_e32 v18, vcc_hi, v4
	;; [unrolled: 8-line block ×5, first 2 shown]
	v_and_b32_e32 v2, v2, v18
	v_lshlrev_b32_e32 v18, 24, v1
	v_xor_b32_e32 v4, vcc_lo, v4
	v_cmp_gt_i64_e32 vcc, 0, v[17:18]
	v_not_b32_e32 v1, v18
	v_ashrrev_i32_e32 v1, 31, v1
	v_and_b32_e32 v3, v3, v4
	v_xor_b32_e32 v4, vcc_hi, v1
	v_xor_b32_e32 v1, vcc_lo, v1
	; wave barrier
	ds_read_b32 v82, v83 offset:16
	v_and_b32_e32 v1, v3, v1
	v_and_b32_e32 v2, v2, v4
	v_mbcnt_lo_u32_b32 v3, v1, 0
	v_mbcnt_hi_u32_b32 v84, v2, v3
	v_cmp_ne_u64_e32 vcc, 0, v[1:2]
	v_cmp_eq_u32_e64 s[34:35], 0, v84
	s_and_b64 s[40:41], vcc, s[34:35]
	; wave barrier
	s_and_saveexec_b64 s[34:35], s[40:41]
	s_cbranch_execz .LBB35_26
; %bb.25:                               ;   in Loop: Header=BB35_6 Depth=2
	v_bcnt_u32_b32 v1, v1, 0
	v_bcnt_u32_b32 v1, v2, v1
	s_waitcnt lgkmcnt(0)
	v_add_u32_e32 v1, v82, v1
	ds_write_b32 v83, v1 offset:16
.LBB35_26:                              ;   in Loop: Header=BB35_6 Depth=2
	s_or_b64 exec, exec, s[34:35]
	v_lshrrev_b32_e32 v1, s7, v57
	v_lshlrev_b32_sdwa v2, v50, v1 dst_sel:DWORD dst_unused:UNUSED_PAD src0_sel:DWORD src1_sel:BYTE_0
	v_add_u32_e32 v86, v48, v2
	v_and_b32_e32 v2, 1, v1
	v_add_co_u32_e32 v3, vcc, -1, v2
	v_addc_co_u32_e64 v4, s[34:35], 0, -1, vcc
	v_cmp_ne_u32_e32 vcc, 0, v2
	v_lshlrev_b32_e32 v18, 30, v1
	v_xor_b32_e32 v2, vcc_hi, v4
	v_xor_b32_e32 v3, vcc_lo, v3
	v_cmp_gt_i64_e32 vcc, 0, v[17:18]
	v_not_b32_e32 v4, v18
	v_ashrrev_i32_e32 v4, 31, v4
	v_and_b32_e32 v2, exec_hi, v2
	v_xor_b32_e32 v18, vcc_hi, v4
	v_and_b32_e32 v3, exec_lo, v3
	v_xor_b32_e32 v4, vcc_lo, v4
	v_and_b32_e32 v2, v2, v18
	v_lshlrev_b32_e32 v18, 29, v1
	v_and_b32_e32 v3, v3, v4
	v_cmp_gt_i64_e32 vcc, 0, v[17:18]
	v_not_b32_e32 v4, v18
	v_ashrrev_i32_e32 v4, 31, v4
	v_xor_b32_e32 v18, vcc_hi, v4
	v_xor_b32_e32 v4, vcc_lo, v4
	v_and_b32_e32 v2, v2, v18
	v_lshlrev_b32_e32 v18, 28, v1
	v_and_b32_e32 v3, v3, v4
	v_cmp_gt_i64_e32 vcc, 0, v[17:18]
	v_not_b32_e32 v4, v18
	v_ashrrev_i32_e32 v4, 31, v4
	v_xor_b32_e32 v18, vcc_hi, v4
	;; [unrolled: 8-line block ×5, first 2 shown]
	v_and_b32_e32 v2, v2, v18
	v_lshlrev_b32_e32 v18, 24, v1
	v_xor_b32_e32 v4, vcc_lo, v4
	v_cmp_gt_i64_e32 vcc, 0, v[17:18]
	v_not_b32_e32 v1, v18
	v_ashrrev_i32_e32 v1, 31, v1
	v_and_b32_e32 v3, v3, v4
	v_xor_b32_e32 v4, vcc_hi, v1
	v_xor_b32_e32 v1, vcc_lo, v1
	; wave barrier
	ds_read_b32 v85, v86 offset:16
	v_and_b32_e32 v1, v3, v1
	v_and_b32_e32 v2, v2, v4
	v_mbcnt_lo_u32_b32 v3, v1, 0
	v_mbcnt_hi_u32_b32 v87, v2, v3
	v_cmp_ne_u64_e32 vcc, 0, v[1:2]
	v_cmp_eq_u32_e64 s[34:35], 0, v87
	s_and_b64 s[40:41], vcc, s[34:35]
	; wave barrier
	s_and_saveexec_b64 s[34:35], s[40:41]
	s_cbranch_execz .LBB35_28
; %bb.27:                               ;   in Loop: Header=BB35_6 Depth=2
	v_bcnt_u32_b32 v1, v1, 0
	v_bcnt_u32_b32 v1, v2, v1
	s_waitcnt lgkmcnt(0)
	v_add_u32_e32 v1, v85, v1
	ds_write_b32 v86, v1 offset:16
.LBB35_28:                              ;   in Loop: Header=BB35_6 Depth=2
	s_or_b64 exec, exec, s[34:35]
	v_lshrrev_b32_e32 v1, s7, v56
	v_lshlrev_b32_sdwa v2, v50, v1 dst_sel:DWORD dst_unused:UNUSED_PAD src0_sel:DWORD src1_sel:BYTE_0
	v_add_u32_e32 v89, v48, v2
	v_and_b32_e32 v2, 1, v1
	v_add_co_u32_e32 v3, vcc, -1, v2
	v_addc_co_u32_e64 v4, s[34:35], 0, -1, vcc
	v_cmp_ne_u32_e32 vcc, 0, v2
	v_lshlrev_b32_e32 v18, 30, v1
	v_xor_b32_e32 v2, vcc_hi, v4
	v_xor_b32_e32 v3, vcc_lo, v3
	v_cmp_gt_i64_e32 vcc, 0, v[17:18]
	v_not_b32_e32 v4, v18
	v_ashrrev_i32_e32 v4, 31, v4
	v_and_b32_e32 v2, exec_hi, v2
	v_xor_b32_e32 v18, vcc_hi, v4
	v_and_b32_e32 v3, exec_lo, v3
	v_xor_b32_e32 v4, vcc_lo, v4
	v_and_b32_e32 v2, v2, v18
	v_lshlrev_b32_e32 v18, 29, v1
	v_and_b32_e32 v3, v3, v4
	v_cmp_gt_i64_e32 vcc, 0, v[17:18]
	v_not_b32_e32 v4, v18
	v_ashrrev_i32_e32 v4, 31, v4
	v_xor_b32_e32 v18, vcc_hi, v4
	v_xor_b32_e32 v4, vcc_lo, v4
	v_and_b32_e32 v2, v2, v18
	v_lshlrev_b32_e32 v18, 28, v1
	v_and_b32_e32 v3, v3, v4
	v_cmp_gt_i64_e32 vcc, 0, v[17:18]
	v_not_b32_e32 v4, v18
	v_ashrrev_i32_e32 v4, 31, v4
	v_xor_b32_e32 v18, vcc_hi, v4
	v_xor_b32_e32 v4, vcc_lo, v4
	v_and_b32_e32 v2, v2, v18
	v_lshlrev_b32_e32 v18, 27, v1
	v_and_b32_e32 v3, v3, v4
	v_cmp_gt_i64_e32 vcc, 0, v[17:18]
	v_not_b32_e32 v4, v18
	v_ashrrev_i32_e32 v4, 31, v4
	v_xor_b32_e32 v18, vcc_hi, v4
	v_xor_b32_e32 v4, vcc_lo, v4
	v_and_b32_e32 v2, v2, v18
	v_lshlrev_b32_e32 v18, 26, v1
	v_and_b32_e32 v3, v3, v4
	v_cmp_gt_i64_e32 vcc, 0, v[17:18]
	v_not_b32_e32 v4, v18
	v_ashrrev_i32_e32 v4, 31, v4
	v_xor_b32_e32 v18, vcc_hi, v4
	v_xor_b32_e32 v4, vcc_lo, v4
	v_and_b32_e32 v2, v2, v18
	v_lshlrev_b32_e32 v18, 25, v1
	v_and_b32_e32 v3, v3, v4
	v_cmp_gt_i64_e32 vcc, 0, v[17:18]
	v_not_b32_e32 v4, v18
	v_ashrrev_i32_e32 v4, 31, v4
	v_xor_b32_e32 v18, vcc_hi, v4
	v_and_b32_e32 v2, v2, v18
	v_lshlrev_b32_e32 v18, 24, v1
	v_xor_b32_e32 v4, vcc_lo, v4
	v_cmp_gt_i64_e32 vcc, 0, v[17:18]
	v_not_b32_e32 v1, v18
	v_ashrrev_i32_e32 v1, 31, v1
	v_and_b32_e32 v3, v3, v4
	v_xor_b32_e32 v4, vcc_hi, v1
	v_xor_b32_e32 v1, vcc_lo, v1
	; wave barrier
	ds_read_b32 v88, v89 offset:16
	v_and_b32_e32 v1, v3, v1
	v_and_b32_e32 v2, v2, v4
	v_mbcnt_lo_u32_b32 v3, v1, 0
	v_mbcnt_hi_u32_b32 v90, v2, v3
	v_cmp_ne_u64_e32 vcc, 0, v[1:2]
	v_cmp_eq_u32_e64 s[34:35], 0, v90
	s_and_b64 s[40:41], vcc, s[34:35]
	; wave barrier
	s_and_saveexec_b64 s[34:35], s[40:41]
	s_cbranch_execz .LBB35_30
; %bb.29:                               ;   in Loop: Header=BB35_6 Depth=2
	v_bcnt_u32_b32 v1, v1, 0
	v_bcnt_u32_b32 v1, v2, v1
	s_waitcnt lgkmcnt(0)
	v_add_u32_e32 v1, v88, v1
	ds_write_b32 v89, v1 offset:16
.LBB35_30:                              ;   in Loop: Header=BB35_6 Depth=2
	s_or_b64 exec, exec, s[34:35]
	v_lshrrev_b32_e32 v1, s7, v55
	v_lshlrev_b32_sdwa v2, v50, v1 dst_sel:DWORD dst_unused:UNUSED_PAD src0_sel:DWORD src1_sel:BYTE_0
	v_add_u32_e32 v92, v48, v2
	v_and_b32_e32 v2, 1, v1
	v_add_co_u32_e32 v3, vcc, -1, v2
	v_addc_co_u32_e64 v4, s[34:35], 0, -1, vcc
	v_cmp_ne_u32_e32 vcc, 0, v2
	v_lshlrev_b32_e32 v18, 30, v1
	v_xor_b32_e32 v2, vcc_hi, v4
	v_xor_b32_e32 v3, vcc_lo, v3
	v_cmp_gt_i64_e32 vcc, 0, v[17:18]
	v_not_b32_e32 v4, v18
	v_ashrrev_i32_e32 v4, 31, v4
	v_and_b32_e32 v2, exec_hi, v2
	v_xor_b32_e32 v18, vcc_hi, v4
	v_and_b32_e32 v3, exec_lo, v3
	v_xor_b32_e32 v4, vcc_lo, v4
	v_and_b32_e32 v2, v2, v18
	v_lshlrev_b32_e32 v18, 29, v1
	v_and_b32_e32 v3, v3, v4
	v_cmp_gt_i64_e32 vcc, 0, v[17:18]
	v_not_b32_e32 v4, v18
	v_ashrrev_i32_e32 v4, 31, v4
	v_xor_b32_e32 v18, vcc_hi, v4
	v_xor_b32_e32 v4, vcc_lo, v4
	v_and_b32_e32 v2, v2, v18
	v_lshlrev_b32_e32 v18, 28, v1
	v_and_b32_e32 v3, v3, v4
	v_cmp_gt_i64_e32 vcc, 0, v[17:18]
	v_not_b32_e32 v4, v18
	v_ashrrev_i32_e32 v4, 31, v4
	v_xor_b32_e32 v18, vcc_hi, v4
	v_xor_b32_e32 v4, vcc_lo, v4
	v_and_b32_e32 v2, v2, v18
	v_lshlrev_b32_e32 v18, 27, v1
	v_and_b32_e32 v3, v3, v4
	v_cmp_gt_i64_e32 vcc, 0, v[17:18]
	v_not_b32_e32 v4, v18
	v_ashrrev_i32_e32 v4, 31, v4
	v_xor_b32_e32 v18, vcc_hi, v4
	v_xor_b32_e32 v4, vcc_lo, v4
	v_and_b32_e32 v2, v2, v18
	v_lshlrev_b32_e32 v18, 26, v1
	v_and_b32_e32 v3, v3, v4
	v_cmp_gt_i64_e32 vcc, 0, v[17:18]
	v_not_b32_e32 v4, v18
	v_ashrrev_i32_e32 v4, 31, v4
	v_xor_b32_e32 v18, vcc_hi, v4
	v_xor_b32_e32 v4, vcc_lo, v4
	v_and_b32_e32 v2, v2, v18
	v_lshlrev_b32_e32 v18, 25, v1
	v_and_b32_e32 v3, v3, v4
	v_cmp_gt_i64_e32 vcc, 0, v[17:18]
	v_not_b32_e32 v4, v18
	v_ashrrev_i32_e32 v4, 31, v4
	v_xor_b32_e32 v18, vcc_hi, v4
	v_and_b32_e32 v2, v2, v18
	v_lshlrev_b32_e32 v18, 24, v1
	v_xor_b32_e32 v4, vcc_lo, v4
	v_cmp_gt_i64_e32 vcc, 0, v[17:18]
	v_not_b32_e32 v1, v18
	v_ashrrev_i32_e32 v1, 31, v1
	v_and_b32_e32 v3, v3, v4
	v_xor_b32_e32 v4, vcc_hi, v1
	v_xor_b32_e32 v1, vcc_lo, v1
	; wave barrier
	ds_read_b32 v91, v92 offset:16
	v_and_b32_e32 v1, v3, v1
	v_and_b32_e32 v2, v2, v4
	v_mbcnt_lo_u32_b32 v3, v1, 0
	v_mbcnt_hi_u32_b32 v93, v2, v3
	v_cmp_ne_u64_e32 vcc, 0, v[1:2]
	v_cmp_eq_u32_e64 s[34:35], 0, v93
	s_and_b64 s[40:41], vcc, s[34:35]
	; wave barrier
	s_and_saveexec_b64 s[34:35], s[40:41]
	s_cbranch_execz .LBB35_32
; %bb.31:                               ;   in Loop: Header=BB35_6 Depth=2
	v_bcnt_u32_b32 v1, v1, 0
	v_bcnt_u32_b32 v1, v2, v1
	s_waitcnt lgkmcnt(0)
	v_add_u32_e32 v1, v91, v1
	ds_write_b32 v92, v1 offset:16
.LBB35_32:                              ;   in Loop: Header=BB35_6 Depth=2
	s_or_b64 exec, exec, s[34:35]
	v_lshrrev_b32_e32 v1, s7, v54
	v_lshlrev_b32_sdwa v2, v50, v1 dst_sel:DWORD dst_unused:UNUSED_PAD src0_sel:DWORD src1_sel:BYTE_0
	v_add_u32_e32 v95, v48, v2
	v_and_b32_e32 v2, 1, v1
	v_add_co_u32_e32 v3, vcc, -1, v2
	v_addc_co_u32_e64 v4, s[34:35], 0, -1, vcc
	v_cmp_ne_u32_e32 vcc, 0, v2
	v_lshlrev_b32_e32 v18, 30, v1
	v_xor_b32_e32 v2, vcc_hi, v4
	v_xor_b32_e32 v3, vcc_lo, v3
	v_cmp_gt_i64_e32 vcc, 0, v[17:18]
	v_not_b32_e32 v4, v18
	v_ashrrev_i32_e32 v4, 31, v4
	v_and_b32_e32 v2, exec_hi, v2
	v_xor_b32_e32 v18, vcc_hi, v4
	v_and_b32_e32 v3, exec_lo, v3
	v_xor_b32_e32 v4, vcc_lo, v4
	v_and_b32_e32 v2, v2, v18
	v_lshlrev_b32_e32 v18, 29, v1
	v_and_b32_e32 v3, v3, v4
	v_cmp_gt_i64_e32 vcc, 0, v[17:18]
	v_not_b32_e32 v4, v18
	v_ashrrev_i32_e32 v4, 31, v4
	v_xor_b32_e32 v18, vcc_hi, v4
	v_xor_b32_e32 v4, vcc_lo, v4
	v_and_b32_e32 v2, v2, v18
	v_lshlrev_b32_e32 v18, 28, v1
	v_and_b32_e32 v3, v3, v4
	v_cmp_gt_i64_e32 vcc, 0, v[17:18]
	v_not_b32_e32 v4, v18
	v_ashrrev_i32_e32 v4, 31, v4
	v_xor_b32_e32 v18, vcc_hi, v4
	;; [unrolled: 8-line block ×5, first 2 shown]
	v_and_b32_e32 v2, v2, v18
	v_lshlrev_b32_e32 v18, 24, v1
	v_xor_b32_e32 v4, vcc_lo, v4
	v_cmp_gt_i64_e32 vcc, 0, v[17:18]
	v_not_b32_e32 v1, v18
	v_ashrrev_i32_e32 v1, 31, v1
	v_and_b32_e32 v3, v3, v4
	v_xor_b32_e32 v4, vcc_hi, v1
	v_xor_b32_e32 v1, vcc_lo, v1
	; wave barrier
	ds_read_b32 v94, v95 offset:16
	v_and_b32_e32 v1, v3, v1
	v_and_b32_e32 v2, v2, v4
	v_mbcnt_lo_u32_b32 v3, v1, 0
	v_mbcnt_hi_u32_b32 v96, v2, v3
	v_cmp_ne_u64_e32 vcc, 0, v[1:2]
	v_cmp_eq_u32_e64 s[34:35], 0, v96
	s_and_b64 s[40:41], vcc, s[34:35]
	; wave barrier
	s_and_saveexec_b64 s[34:35], s[40:41]
	s_cbranch_execz .LBB35_34
; %bb.33:                               ;   in Loop: Header=BB35_6 Depth=2
	v_bcnt_u32_b32 v1, v1, 0
	v_bcnt_u32_b32 v1, v2, v1
	s_waitcnt lgkmcnt(0)
	v_add_u32_e32 v1, v94, v1
	ds_write_b32 v95, v1 offset:16
.LBB35_34:                              ;   in Loop: Header=BB35_6 Depth=2
	s_or_b64 exec, exec, s[34:35]
	v_lshrrev_b32_e32 v1, s7, v53
	v_lshlrev_b32_sdwa v2, v50, v1 dst_sel:DWORD dst_unused:UNUSED_PAD src0_sel:DWORD src1_sel:BYTE_0
	v_add_u32_e32 v98, v48, v2
	v_and_b32_e32 v2, 1, v1
	v_add_co_u32_e32 v3, vcc, -1, v2
	v_addc_co_u32_e64 v4, s[34:35], 0, -1, vcc
	v_cmp_ne_u32_e32 vcc, 0, v2
	v_lshlrev_b32_e32 v18, 30, v1
	v_xor_b32_e32 v2, vcc_hi, v4
	v_xor_b32_e32 v3, vcc_lo, v3
	v_cmp_gt_i64_e32 vcc, 0, v[17:18]
	v_not_b32_e32 v4, v18
	v_ashrrev_i32_e32 v4, 31, v4
	v_and_b32_e32 v2, exec_hi, v2
	v_xor_b32_e32 v18, vcc_hi, v4
	v_and_b32_e32 v3, exec_lo, v3
	v_xor_b32_e32 v4, vcc_lo, v4
	v_and_b32_e32 v2, v2, v18
	v_lshlrev_b32_e32 v18, 29, v1
	v_and_b32_e32 v3, v3, v4
	v_cmp_gt_i64_e32 vcc, 0, v[17:18]
	v_not_b32_e32 v4, v18
	v_ashrrev_i32_e32 v4, 31, v4
	v_xor_b32_e32 v18, vcc_hi, v4
	v_xor_b32_e32 v4, vcc_lo, v4
	v_and_b32_e32 v2, v2, v18
	v_lshlrev_b32_e32 v18, 28, v1
	v_and_b32_e32 v3, v3, v4
	v_cmp_gt_i64_e32 vcc, 0, v[17:18]
	v_not_b32_e32 v4, v18
	v_ashrrev_i32_e32 v4, 31, v4
	v_xor_b32_e32 v18, vcc_hi, v4
	;; [unrolled: 8-line block ×5, first 2 shown]
	v_and_b32_e32 v2, v2, v18
	v_lshlrev_b32_e32 v18, 24, v1
	v_xor_b32_e32 v4, vcc_lo, v4
	v_cmp_gt_i64_e32 vcc, 0, v[17:18]
	v_not_b32_e32 v1, v18
	v_ashrrev_i32_e32 v1, 31, v1
	v_and_b32_e32 v3, v3, v4
	v_xor_b32_e32 v4, vcc_hi, v1
	v_xor_b32_e32 v1, vcc_lo, v1
	; wave barrier
	ds_read_b32 v97, v98 offset:16
	v_and_b32_e32 v1, v3, v1
	v_and_b32_e32 v2, v2, v4
	v_mbcnt_lo_u32_b32 v3, v1, 0
	v_mbcnt_hi_u32_b32 v99, v2, v3
	v_cmp_ne_u64_e32 vcc, 0, v[1:2]
	v_cmp_eq_u32_e64 s[34:35], 0, v99
	s_and_b64 s[40:41], vcc, s[34:35]
	; wave barrier
	s_and_saveexec_b64 s[34:35], s[40:41]
	s_cbranch_execz .LBB35_36
; %bb.35:                               ;   in Loop: Header=BB35_6 Depth=2
	v_bcnt_u32_b32 v1, v1, 0
	v_bcnt_u32_b32 v1, v2, v1
	s_waitcnt lgkmcnt(0)
	v_add_u32_e32 v1, v97, v1
	ds_write_b32 v98, v1 offset:16
.LBB35_36:                              ;   in Loop: Header=BB35_6 Depth=2
	s_or_b64 exec, exec, s[34:35]
	v_lshrrev_b32_e32 v1, s7, v52
	v_lshlrev_b32_sdwa v2, v50, v1 dst_sel:DWORD dst_unused:UNUSED_PAD src0_sel:DWORD src1_sel:BYTE_0
	v_add_u32_e32 v101, v48, v2
	v_and_b32_e32 v2, 1, v1
	v_add_co_u32_e32 v3, vcc, -1, v2
	v_addc_co_u32_e64 v4, s[34:35], 0, -1, vcc
	v_cmp_ne_u32_e32 vcc, 0, v2
	v_lshlrev_b32_e32 v18, 30, v1
	v_xor_b32_e32 v2, vcc_hi, v4
	v_xor_b32_e32 v3, vcc_lo, v3
	v_cmp_gt_i64_e32 vcc, 0, v[17:18]
	v_not_b32_e32 v4, v18
	v_ashrrev_i32_e32 v4, 31, v4
	v_and_b32_e32 v2, exec_hi, v2
	v_xor_b32_e32 v18, vcc_hi, v4
	v_and_b32_e32 v3, exec_lo, v3
	v_xor_b32_e32 v4, vcc_lo, v4
	v_and_b32_e32 v2, v2, v18
	v_lshlrev_b32_e32 v18, 29, v1
	v_and_b32_e32 v3, v3, v4
	v_cmp_gt_i64_e32 vcc, 0, v[17:18]
	v_not_b32_e32 v4, v18
	v_ashrrev_i32_e32 v4, 31, v4
	v_xor_b32_e32 v18, vcc_hi, v4
	v_xor_b32_e32 v4, vcc_lo, v4
	v_and_b32_e32 v2, v2, v18
	v_lshlrev_b32_e32 v18, 28, v1
	v_and_b32_e32 v3, v3, v4
	v_cmp_gt_i64_e32 vcc, 0, v[17:18]
	v_not_b32_e32 v4, v18
	v_ashrrev_i32_e32 v4, 31, v4
	v_xor_b32_e32 v18, vcc_hi, v4
	;; [unrolled: 8-line block ×5, first 2 shown]
	v_and_b32_e32 v2, v2, v18
	v_lshlrev_b32_e32 v18, 24, v1
	v_xor_b32_e32 v4, vcc_lo, v4
	v_cmp_gt_i64_e32 vcc, 0, v[17:18]
	v_not_b32_e32 v1, v18
	v_ashrrev_i32_e32 v1, 31, v1
	v_and_b32_e32 v3, v3, v4
	v_xor_b32_e32 v4, vcc_hi, v1
	v_xor_b32_e32 v1, vcc_lo, v1
	; wave barrier
	ds_read_b32 v100, v101 offset:16
	v_and_b32_e32 v1, v3, v1
	v_and_b32_e32 v2, v2, v4
	v_mbcnt_lo_u32_b32 v3, v1, 0
	v_mbcnt_hi_u32_b32 v102, v2, v3
	v_cmp_ne_u64_e32 vcc, 0, v[1:2]
	v_cmp_eq_u32_e64 s[34:35], 0, v102
	s_and_b64 s[40:41], vcc, s[34:35]
	; wave barrier
	s_and_saveexec_b64 s[34:35], s[40:41]
	s_cbranch_execz .LBB35_38
; %bb.37:                               ;   in Loop: Header=BB35_6 Depth=2
	v_bcnt_u32_b32 v1, v1, 0
	v_bcnt_u32_b32 v1, v2, v1
	s_waitcnt lgkmcnt(0)
	v_add_u32_e32 v1, v100, v1
	ds_write_b32 v101, v1 offset:16
.LBB35_38:                              ;   in Loop: Header=BB35_6 Depth=2
	s_or_b64 exec, exec, s[34:35]
	; wave barrier
	s_waitcnt lgkmcnt(0)
	s_barrier
	ds_read2_b64 v[1:4], v23 offset0:2 offset1:3
	s_waitcnt lgkmcnt(0)
	v_add_u32_e32 v18, v2, v1
	v_add3_u32 v4, v18, v3, v4
	s_nop 1
	v_mov_b32_dpp v18, v4 row_shr:1 row_mask:0xf bank_mask:0xf
	v_cndmask_b32_e64 v18, v18, 0, s[14:15]
	v_add_u32_e32 v4, v18, v4
	s_nop 1
	v_mov_b32_dpp v18, v4 row_shr:2 row_mask:0xf bank_mask:0xf
	v_cndmask_b32_e64 v18, 0, v18, s[16:17]
	v_add_u32_e32 v4, v4, v18
	;; [unrolled: 4-line block ×4, first 2 shown]
	s_nop 1
	v_mov_b32_dpp v18, v4 row_bcast:15 row_mask:0xf bank_mask:0xf
	v_cndmask_b32_e64 v18, v18, 0, s[22:23]
	v_add_u32_e32 v4, v4, v18
	s_nop 1
	v_mov_b32_dpp v18, v4 row_bcast:31 row_mask:0xf bank_mask:0xf
	v_cndmask_b32_e64 v18, 0, v18, s[10:11]
	v_add_u32_e32 v4, v4, v18
	s_and_saveexec_b64 s[34:35], s[24:25]
; %bb.39:                               ;   in Loop: Header=BB35_6 Depth=2
	ds_write_b32 v26, v4
; %bb.40:                               ;   in Loop: Header=BB35_6 Depth=2
	s_or_b64 exec, exec, s[34:35]
	s_waitcnt lgkmcnt(0)
	s_barrier
	s_and_saveexec_b64 s[34:35], s[2:3]
	s_cbranch_execz .LBB35_42
; %bb.41:                               ;   in Loop: Header=BB35_6 Depth=2
	ds_read_b32 v18, v27
	s_waitcnt lgkmcnt(0)
	s_nop 0
	v_mov_b32_dpp v103, v18 row_shr:1 row_mask:0xf bank_mask:0xf
	v_cndmask_b32_e64 v103, v103, 0, s[26:27]
	v_add_u32_e32 v18, v103, v18
	s_nop 1
	v_mov_b32_dpp v103, v18 row_shr:2 row_mask:0xf bank_mask:0xf
	v_cndmask_b32_e64 v103, 0, v103, s[28:29]
	v_add_u32_e32 v18, v18, v103
	ds_write_b32 v27, v18
.LBB35_42:                              ;   in Loop: Header=BB35_6 Depth=2
	s_or_b64 exec, exec, s[34:35]
	v_mov_b32_e32 v18, 0
	s_waitcnt lgkmcnt(0)
	s_barrier
	s_and_saveexec_b64 s[34:35], s[4:5]
; %bb.43:                               ;   in Loop: Header=BB35_6 Depth=2
	ds_read_b32 v18, v44
; %bb.44:                               ;   in Loop: Header=BB35_6 Depth=2
	s_or_b64 exec, exec, s[34:35]
	s_waitcnt lgkmcnt(0)
	v_add_u32_e32 v4, v18, v4
	ds_bpermute_b32 v4, v47, v4
	s_cmp_gt_u32 s7, 23
	s_waitcnt lgkmcnt(0)
	v_cndmask_b32_e64 v4, v4, v18, s[12:13]
	v_cndmask_b32_e64 v103, v4, 0, s[30:31]
	v_add_u32_e32 v104, v103, v1
	v_add_u32_e32 v1, v104, v2
	;; [unrolled: 1-line block ×3, first 2 shown]
	ds_write2_b64 v23, v[103:104], v[1:2] offset0:2 offset1:3
	s_waitcnt lgkmcnt(0)
	s_barrier
	ds_read_b32 v1, v8 offset:16
	ds_read_b32 v2, v83 offset:16
	;; [unrolled: 1-line block ×8, first 2 shown]
	s_waitcnt lgkmcnt(7)
	v_add_u32_e32 v83, v1, v5
	ds_read_b32 v1, v7 offset:16
	ds_read_b32 v5, v11 offset:16
	;; [unrolled: 1-line block ×8, first 2 shown]
	s_waitcnt lgkmcnt(7)
	v_add3_u32 v95, v9, v6, v1
	s_waitcnt lgkmcnt(6)
	v_add3_u32 v92, v12, v10, v5
	;; [unrolled: 2-line block ×8, first 2 shown]
	v_add3_u32 v73, v84, v82, v2
	v_add3_u32 v72, v87, v85, v3
	;; [unrolled: 1-line block ×7, first 2 shown]
	s_cbranch_scc0 .LBB35_5
; %bb.45:                               ;   in Loop: Header=BB35_2 Depth=1
                                        ; implicit-def: $sgpr7
                                        ; implicit-def: $vgpr1
                                        ; implicit-def: $vgpr3
                                        ; implicit-def: $vgpr5
                                        ; implicit-def: $vgpr7
                                        ; implicit-def: $vgpr9
                                        ; implicit-def: $vgpr11
                                        ; implicit-def: $vgpr13
                                        ; implicit-def: $vgpr15
.LBB35_46:                              ;   in Loop: Header=BB35_2 Depth=1
	v_lshlrev_b32_e32 v1, 2, v83
	s_barrier
	ds_write_b32 v1, v67
	v_lshlrev_b32_e32 v1, 2, v95
	ds_write_b32 v1, v66
	v_lshlrev_b32_e32 v1, 2, v92
	;; [unrolled: 2-line block ×15, first 2 shown]
	ds_write_b32 v1, v52
	s_waitcnt lgkmcnt(0)
	s_barrier
	ds_read2_b64 v[1:4], v45 offset0:6 offset1:7
	ds_read2_b64 v[5:8], v45 offset0:4 offset1:5
	ds_read2_b64 v[13:16], v45 offset1:1
	ds_read2_b64 v[9:12], v45 offset0:2 offset1:3
	s_waitcnt lgkmcnt(0)
	v_xor_b32_e32 v18, 0x80000000, v3
	v_xor_b32_e32 v52, 0x80000000, v4
	v_cmp_ne_u32_e32 vcc, v3, v4
	v_lshlrev_b32_e32 v18, 2, v18
	s_barrier
	ds_write2st64_b32 v51, v49, v49 offset0:8 offset1:12
	s_waitcnt lgkmcnt(0)
	s_barrier
	ds_write_b32 v27, v52
	s_and_saveexec_b64 s[34:35], vcc
	s_cbranch_execz .LBB35_48
; %bb.47:                               ;   in Loop: Header=BB35_2 Depth=1
	v_lshlrev_b32_e32 v52, 2, v52
	ds_write_b32 v52, v28 offset:2048
	ds_write_b32 v18, v28 offset:3072
.LBB35_48:                              ;   in Loop: Header=BB35_2 Depth=1
	s_or_b64 exec, exec, s[34:35]
	v_xor_b32_e32 v52, 0x80000000, v2
	v_cmp_ne_u32_e32 vcc, v2, v3
	v_lshlrev_b32_e32 v52, 2, v52
	s_and_saveexec_b64 s[34:35], vcc
	s_cbranch_execz .LBB35_50
; %bb.49:                               ;   in Loop: Header=BB35_2 Depth=1
	ds_write_b32 v18, v29 offset:2048
	ds_write_b32 v52, v29 offset:3072
.LBB35_50:                              ;   in Loop: Header=BB35_2 Depth=1
	s_or_b64 exec, exec, s[34:35]
	v_xor_b32_e32 v18, 0x80000000, v1
	v_cmp_ne_u32_e32 vcc, v1, v2
	v_lshlrev_b32_e32 v18, 2, v18
	s_and_saveexec_b64 s[34:35], vcc
	s_cbranch_execz .LBB35_52
; %bb.51:                               ;   in Loop: Header=BB35_2 Depth=1
	ds_write_b32 v52, v30 offset:2048
	ds_write_b32 v18, v30 offset:3072
.LBB35_52:                              ;   in Loop: Header=BB35_2 Depth=1
	;; [unrolled: 10-line block ×14, first 2 shown]
	s_or_b64 exec, exec, s[34:35]
	s_waitcnt lgkmcnt(0)
	s_barrier
	s_and_saveexec_b64 s[34:35], s[8:9]
	s_cbranch_execz .LBB35_79
; %bb.77:                               ;   in Loop: Header=BB35_2 Depth=1
	ds_read_b32 v53, v46
	s_waitcnt lgkmcnt(0)
	v_cmp_ne_u32_e32 vcc, v53, v52
	s_and_b64 exec, exec, vcc
	s_cbranch_execz .LBB35_79
; %bb.78:                               ;   in Loop: Header=BB35_2 Depth=1
	ds_write_b32 v18, v23 offset:2048
	ds_read_b32 v52, v46
	s_waitcnt lgkmcnt(0)
	v_lshlrev_b32_e32 v52, 2, v52
	ds_write_b32 v52, v23 offset:3072
.LBB35_79:                              ;   in Loop: Header=BB35_2 Depth=1
	s_or_b64 exec, exec, s[34:35]
	s_waitcnt lgkmcnt(0)
	s_barrier
	s_and_saveexec_b64 s[34:35], s[30:31]
	s_cbranch_execz .LBB35_1
; %bb.80:                               ;   in Loop: Header=BB35_2 Depth=1
	ds_write_b32 v18, v17 offset:2048
	s_branch .LBB35_1
.LBB35_81:
	v_lshl_or_b32 v0, s6, 8, v0
	v_mov_b32_e32 v1, 0
	v_lshlrev_b64 v[0:1], 2, v[0:1]
	v_mov_b32_e32 v2, s39
	v_add_co_u32_e32 v0, vcc, s38, v0
	v_addc_co_u32_e32 v1, vcc, v2, v1, vcc
	global_store_dword v[0:1], v18, off
	s_endpgm
	.section	.rodata,"a",@progbits
	.p2align	6, 0x0
	.amdhsa_kernel _Z6kernelI9histogramILN6hipcub23BlockHistogramAlgorithmE1EEiLj256ELj16ELj256ELj100EEvPKT0_PS4_
		.amdhsa_group_segment_fixed_size 17408
		.amdhsa_private_segment_fixed_size 0
		.amdhsa_kernarg_size 272
		.amdhsa_user_sgpr_count 6
		.amdhsa_user_sgpr_private_segment_buffer 1
		.amdhsa_user_sgpr_dispatch_ptr 0
		.amdhsa_user_sgpr_queue_ptr 0
		.amdhsa_user_sgpr_kernarg_segment_ptr 1
		.amdhsa_user_sgpr_dispatch_id 0
		.amdhsa_user_sgpr_flat_scratch_init 0
		.amdhsa_user_sgpr_private_segment_size 0
		.amdhsa_uses_dynamic_stack 0
		.amdhsa_system_sgpr_private_segment_wavefront_offset 0
		.amdhsa_system_sgpr_workgroup_id_x 1
		.amdhsa_system_sgpr_workgroup_id_y 0
		.amdhsa_system_sgpr_workgroup_id_z 0
		.amdhsa_system_sgpr_workgroup_info 0
		.amdhsa_system_vgpr_workitem_id 2
		.amdhsa_next_free_vgpr 105
		.amdhsa_next_free_sgpr 98
		.amdhsa_reserve_vcc 1
		.amdhsa_reserve_flat_scratch 0
		.amdhsa_float_round_mode_32 0
		.amdhsa_float_round_mode_16_64 0
		.amdhsa_float_denorm_mode_32 3
		.amdhsa_float_denorm_mode_16_64 3
		.amdhsa_dx10_clamp 1
		.amdhsa_ieee_mode 1
		.amdhsa_fp16_overflow 0
		.amdhsa_exception_fp_ieee_invalid_op 0
		.amdhsa_exception_fp_denorm_src 0
		.amdhsa_exception_fp_ieee_div_zero 0
		.amdhsa_exception_fp_ieee_overflow 0
		.amdhsa_exception_fp_ieee_underflow 0
		.amdhsa_exception_fp_ieee_inexact 0
		.amdhsa_exception_int_div_zero 0
	.end_amdhsa_kernel
	.section	.text._Z6kernelI9histogramILN6hipcub23BlockHistogramAlgorithmE1EEiLj256ELj16ELj256ELj100EEvPKT0_PS4_,"axG",@progbits,_Z6kernelI9histogramILN6hipcub23BlockHistogramAlgorithmE1EEiLj256ELj16ELj256ELj100EEvPKT0_PS4_,comdat
.Lfunc_end35:
	.size	_Z6kernelI9histogramILN6hipcub23BlockHistogramAlgorithmE1EEiLj256ELj16ELj256ELj100EEvPKT0_PS4_, .Lfunc_end35-_Z6kernelI9histogramILN6hipcub23BlockHistogramAlgorithmE1EEiLj256ELj16ELj256ELj100EEvPKT0_PS4_
                                        ; -- End function
	.set _Z6kernelI9histogramILN6hipcub23BlockHistogramAlgorithmE1EEiLj256ELj16ELj256ELj100EEvPKT0_PS4_.num_vgpr, 105
	.set _Z6kernelI9histogramILN6hipcub23BlockHistogramAlgorithmE1EEiLj256ELj16ELj256ELj100EEvPKT0_PS4_.num_agpr, 0
	.set _Z6kernelI9histogramILN6hipcub23BlockHistogramAlgorithmE1EEiLj256ELj16ELj256ELj100EEvPKT0_PS4_.numbered_sgpr, 42
	.set _Z6kernelI9histogramILN6hipcub23BlockHistogramAlgorithmE1EEiLj256ELj16ELj256ELj100EEvPKT0_PS4_.num_named_barrier, 0
	.set _Z6kernelI9histogramILN6hipcub23BlockHistogramAlgorithmE1EEiLj256ELj16ELj256ELj100EEvPKT0_PS4_.private_seg_size, 0
	.set _Z6kernelI9histogramILN6hipcub23BlockHistogramAlgorithmE1EEiLj256ELj16ELj256ELj100EEvPKT0_PS4_.uses_vcc, 1
	.set _Z6kernelI9histogramILN6hipcub23BlockHistogramAlgorithmE1EEiLj256ELj16ELj256ELj100EEvPKT0_PS4_.uses_flat_scratch, 0
	.set _Z6kernelI9histogramILN6hipcub23BlockHistogramAlgorithmE1EEiLj256ELj16ELj256ELj100EEvPKT0_PS4_.has_dyn_sized_stack, 0
	.set _Z6kernelI9histogramILN6hipcub23BlockHistogramAlgorithmE1EEiLj256ELj16ELj256ELj100EEvPKT0_PS4_.has_recursion, 0
	.set _Z6kernelI9histogramILN6hipcub23BlockHistogramAlgorithmE1EEiLj256ELj16ELj256ELj100EEvPKT0_PS4_.has_indirect_call, 0
	.section	.AMDGPU.csdata,"",@progbits
; Kernel info:
; codeLenInByte = 8712
; TotalNumSgprs: 46
; NumVgprs: 105
; ScratchSize: 0
; MemoryBound: 0
; FloatMode: 240
; IeeeMode: 1
; LDSByteSize: 17408 bytes/workgroup (compile time only)
; SGPRBlocks: 12
; VGPRBlocks: 26
; NumSGPRsForWavesPerEU: 102
; NumVGPRsForWavesPerEU: 105
; Occupancy: 2
; WaveLimiterHint : 0
; COMPUTE_PGM_RSRC2:SCRATCH_EN: 0
; COMPUTE_PGM_RSRC2:USER_SGPR: 6
; COMPUTE_PGM_RSRC2:TRAP_HANDLER: 0
; COMPUTE_PGM_RSRC2:TGID_X_EN: 1
; COMPUTE_PGM_RSRC2:TGID_Y_EN: 0
; COMPUTE_PGM_RSRC2:TGID_Z_EN: 0
; COMPUTE_PGM_RSRC2:TIDIG_COMP_CNT: 2
	.section	.text._Z6kernelI9histogramILN6hipcub23BlockHistogramAlgorithmE1EEiLj320ELj1ELj320ELj100EEvPKT0_PS4_,"axG",@progbits,_Z6kernelI9histogramILN6hipcub23BlockHistogramAlgorithmE1EEiLj320ELj1ELj320ELj100EEvPKT0_PS4_,comdat
	.protected	_Z6kernelI9histogramILN6hipcub23BlockHistogramAlgorithmE1EEiLj320ELj1ELj320ELj100EEvPKT0_PS4_ ; -- Begin function _Z6kernelI9histogramILN6hipcub23BlockHistogramAlgorithmE1EEiLj320ELj1ELj320ELj100EEvPKT0_PS4_
	.globl	_Z6kernelI9histogramILN6hipcub23BlockHistogramAlgorithmE1EEiLj320ELj1ELj320ELj100EEvPKT0_PS4_
	.p2align	8
	.type	_Z6kernelI9histogramILN6hipcub23BlockHistogramAlgorithmE1EEiLj320ELj1ELj320ELj100EEvPKT0_PS4_,@function
_Z6kernelI9histogramILN6hipcub23BlockHistogramAlgorithmE1EEiLj320ELj1ELj320ELj100EEvPKT0_PS4_: ; @_Z6kernelI9histogramILN6hipcub23BlockHistogramAlgorithmE1EEiLj320ELj1ELj320ELj100EEvPKT0_PS4_
; %bb.0:
	s_load_dwordx4 s[36:39], s[4:5], 0x0
	s_load_dword s30, s[4:5], 0x1c
	s_mulk_i32 s6, 0x140
	v_mov_b32_e32 v5, 0
	v_add_u32_e32 v3, s6, v0
	v_mov_b32_e32 v4, v5
	v_lshlrev_b64 v[3:4], 2, v[3:4]
	s_waitcnt lgkmcnt(0)
	v_mov_b32_e32 v7, s37
	v_add_co_u32_e32 v6, vcc, s36, v3
	v_addc_co_u32_e32 v7, vcc, v7, v4, vcc
	global_load_dword v6, v[6:7], off
	v_mbcnt_lo_u32_b32 v7, -1, 0
	v_mbcnt_hi_u32_b32 v7, -1, v7
	v_and_b32_e32 v21, 16, v7
	v_and_b32_e32 v20, 15, v7
	v_cmp_eq_u32_e64 s[20:21], 0, v21
	v_and_b32_e32 v21, 7, v7
	v_cmp_eq_u32_e64 s[10:11], 0, v20
	v_cmp_lt_u32_e64 s[12:13], 1, v20
	v_cmp_lt_u32_e64 s[14:15], 3, v20
	;; [unrolled: 1-line block ×3, first 2 shown]
	v_subrev_co_u32_e64 v20, s[18:19], 1, v7
	v_cmp_eq_u32_e64 s[22:23], 0, v21
	v_cmp_lt_u32_e64 s[24:25], 1, v21
	v_cmp_lt_u32_e64 s[26:27], 3, v21
	v_and_b32_e32 v21, 64, v7
	v_cmp_lt_i32_e64 s[28:29], v20, v21
	v_cndmask_b32_e64 v23, v20, v7, s[28:29]
	s_lshr_b32 s28, s30, 16
	s_and_b32 s29, s30, 0xffff
	v_mad_u32_u24 v1, v2, s28, v1
	v_mad_u64_u32 v[1:2], s[28:29], v1, s29, v[0:1]
	v_and_b32_e32 v18, 0x1c0, v0
	v_lshrrev_b32_e32 v19, 4, v0
	v_lshlrev_b32_e32 v17, 4, v0
	v_min_u32_e32 v22, 0x100, v18
	s_movk_i32 s0, 0x140
	v_mov_b32_e32 v15, 0x1420
	v_lshlrev_b32_e32 v21, 2, v18
	v_and_b32_e32 v18, 28, v19
	v_mad_i32_i24 v20, v0, -12, v17
	v_or_b32_e32 v2, 63, v22
	v_lshrrev_b32_e32 v1, 4, v1
	s_movk_i32 s33, 0x64
	s_movk_i32 s36, 0xff
	v_mov_b32_e32 v8, 20
	v_mov_b32_e32 v9, 1
	;; [unrolled: 1-line block ×8, first 2 shown]
	v_cmp_gt_u32_e32 vcc, s0, v0
	v_cmp_gt_u32_e64 s[0:1], 5, v0
	v_cmp_lt_u32_e64 s[2:3], 63, v0
	v_cmp_eq_u32_e64 s[4:5], 0, v0
	v_cmp_ne_u32_e64 s[6:7], 0, v0
	v_lshl_add_u32 v15, v0, 2, v15
	v_cmp_lt_u32_e64 s[8:9], 31, v7
	v_lshl_add_u32 v19, v7, 2, v21
	v_cmp_eq_u32_e64 s[28:29], v0, v2
	v_add_u32_e32 v21, -4, v18
	v_add_u32_e32 v22, -4, v20
	v_lshlrev_b32_e32 v23, 2, v23
	v_and_b32_e32 v24, 0xffffffc, v1
	v_mov_b32_e32 v25, 24
	s_waitcnt vmcnt(0)
	v_xor_b32_e32 v26, 0x80000000, v6
	s_branch .LBB36_2
.LBB36_1:                               ;   in Loop: Header=BB36_2 Depth=1
	s_or_b64 exec, exec, s[30:31]
	s_add_i32 s33, s33, -1
	s_cmp_lg_u32 s33, 0
	s_cbranch_scc0 .LBB36_45
.LBB36_2:                               ; =>This Inner Loop Header: Depth=1
	s_and_saveexec_b64 s[30:31], vcc
; %bb.3:                                ;   in Loop: Header=BB36_2 Depth=1
	ds_write_b32 v15, v5
; %bb.4:                                ;   in Loop: Header=BB36_2 Depth=1
	s_or_b64 exec, exec, s[30:31]
	v_and_b32_e32 v1, 1, v26
	v_add_co_u32_e64 v2, s[30:31], -1, v1
	v_addc_co_u32_e64 v6, s[30:31], 0, -1, s[30:31]
	v_cmp_ne_u32_e64 s[30:31], 0, v1
	v_xor_b32_e32 v1, s31, v6
	v_lshlrev_b32_e32 v6, 30, v26
	v_xor_b32_e32 v2, s30, v2
	v_cmp_gt_i64_e64 s[30:31], 0, v[5:6]
	v_not_b32_e32 v6, v6
	v_ashrrev_i32_e32 v6, 31, v6
	v_and_b32_e32 v2, exec_lo, v2
	v_xor_b32_e32 v27, s31, v6
	v_xor_b32_e32 v6, s30, v6
	v_and_b32_e32 v2, v2, v6
	v_lshlrev_b32_e32 v6, 29, v26
	v_cmp_gt_i64_e64 s[30:31], 0, v[5:6]
	v_not_b32_e32 v6, v6
	v_and_b32_e32 v1, exec_hi, v1
	v_ashrrev_i32_e32 v6, 31, v6
	v_and_b32_e32 v1, v1, v27
	v_xor_b32_e32 v27, s31, v6
	v_xor_b32_e32 v6, s30, v6
	v_and_b32_e32 v2, v2, v6
	v_lshlrev_b32_e32 v6, 28, v26
	v_cmp_gt_i64_e64 s[30:31], 0, v[5:6]
	v_not_b32_e32 v6, v6
	v_ashrrev_i32_e32 v6, 31, v6
	v_and_b32_e32 v1, v1, v27
	v_xor_b32_e32 v27, s31, v6
	v_xor_b32_e32 v6, s30, v6
	v_and_b32_e32 v2, v2, v6
	v_lshlrev_b32_e32 v6, 27, v26
	v_cmp_gt_i64_e64 s[30:31], 0, v[5:6]
	v_not_b32_e32 v6, v6
	;; [unrolled: 8-line block ×4, first 2 shown]
	v_ashrrev_i32_e32 v6, 31, v6
	v_and_b32_e32 v1, v1, v27
	v_xor_b32_e32 v27, s31, v6
	v_xor_b32_e32 v6, s30, v6
	v_and_b32_e32 v1, v1, v27
	v_and_b32_e32 v27, v2, v6
	v_lshlrev_b32_e32 v6, 24, v26
	v_cmp_gt_i64_e64 s[30:31], 0, v[5:6]
	v_not_b32_e32 v2, v6
	v_ashrrev_i32_e32 v2, 31, v2
	v_xor_b32_e32 v6, s31, v2
	v_xor_b32_e32 v28, s30, v2
	v_and_b32_e32 v2, v1, v6
	v_and_b32_e32 v1, v27, v28
	v_mbcnt_lo_u32_b32 v6, v1, 0
	v_mbcnt_hi_u32_b32 v27, v2, v6
	v_cmp_ne_u64_e64 s[30:31], 0, v[1:2]
	v_mul_u32_u24_sdwa v7, v26, v8 dst_sel:DWORD dst_unused:UNUSED_PAD src0_sel:BYTE_0 src1_sel:DWORD
	v_cmp_eq_u32_e64 s[34:35], 0, v27
	s_and_b64 s[34:35], s[30:31], s[34:35]
	v_add_u32_e32 v28, v24, v7
	s_waitcnt lgkmcnt(0)
	s_barrier
	ds_write2_b32 v17, v5, v5 offset0:5 offset1:6
	ds_write2_b32 v17, v5, v5 offset0:7 offset1:8
	s_waitcnt lgkmcnt(0)
	s_barrier
	; wave barrier
	s_and_saveexec_b64 s[30:31], s[34:35]
; %bb.5:                                ;   in Loop: Header=BB36_2 Depth=1
	v_bcnt_u32_b32 v1, v1, 0
	v_bcnt_u32_b32 v1, v2, v1
	ds_write_b32 v28, v1 offset:20
; %bb.6:                                ;   in Loop: Header=BB36_2 Depth=1
	s_or_b64 exec, exec, s[30:31]
	; wave barrier
	s_waitcnt lgkmcnt(0)
	s_barrier
	ds_read2_b32 v[6:7], v17 offset0:5 offset1:6
	ds_read2_b32 v[1:2], v17 offset0:7 offset1:8
	s_waitcnt lgkmcnt(1)
	v_add_u32_e32 v29, v7, v6
	s_waitcnt lgkmcnt(0)
	v_add3_u32 v2, v29, v1, v2
	s_nop 1
	v_mov_b32_dpp v29, v2 row_shr:1 row_mask:0xf bank_mask:0xf
	v_cndmask_b32_e64 v29, v29, 0, s[10:11]
	v_add_u32_e32 v2, v29, v2
	s_nop 1
	v_mov_b32_dpp v29, v2 row_shr:2 row_mask:0xf bank_mask:0xf
	v_cndmask_b32_e64 v29, 0, v29, s[12:13]
	v_add_u32_e32 v2, v2, v29
	;; [unrolled: 4-line block ×4, first 2 shown]
	s_nop 1
	v_mov_b32_dpp v29, v2 row_bcast:15 row_mask:0xf bank_mask:0xf
	v_cndmask_b32_e64 v29, v29, 0, s[20:21]
	v_add_u32_e32 v2, v2, v29
	s_nop 1
	v_mov_b32_dpp v29, v2 row_bcast:31 row_mask:0xf bank_mask:0xf
	v_cndmask_b32_e64 v29, 0, v29, s[8:9]
	v_add_u32_e32 v2, v2, v29
	s_and_saveexec_b64 s[30:31], s[28:29]
; %bb.7:                                ;   in Loop: Header=BB36_2 Depth=1
	ds_write_b32 v18, v2
; %bb.8:                                ;   in Loop: Header=BB36_2 Depth=1
	s_or_b64 exec, exec, s[30:31]
	s_waitcnt lgkmcnt(0)
	s_barrier
	s_and_saveexec_b64 s[30:31], s[0:1]
	s_cbranch_execz .LBB36_10
; %bb.9:                                ;   in Loop: Header=BB36_2 Depth=1
	ds_read_b32 v29, v20
	s_waitcnt lgkmcnt(0)
	s_nop 0
	v_mov_b32_dpp v30, v29 row_shr:1 row_mask:0xf bank_mask:0xf
	v_cndmask_b32_e64 v30, v30, 0, s[22:23]
	v_add_u32_e32 v29, v30, v29
	s_nop 1
	v_mov_b32_dpp v30, v29 row_shr:2 row_mask:0xf bank_mask:0xf
	v_cndmask_b32_e64 v30, 0, v30, s[24:25]
	v_add_u32_e32 v29, v29, v30
	;; [unrolled: 4-line block ×3, first 2 shown]
	ds_write_b32 v20, v29
.LBB36_10:                              ;   in Loop: Header=BB36_2 Depth=1
	s_or_b64 exec, exec, s[30:31]
	v_mov_b32_e32 v29, 0
	s_waitcnt lgkmcnt(0)
	s_barrier
	s_and_saveexec_b64 s[30:31], s[2:3]
; %bb.11:                               ;   in Loop: Header=BB36_2 Depth=1
	ds_read_b32 v29, v21
; %bb.12:                               ;   in Loop: Header=BB36_2 Depth=1
	s_or_b64 exec, exec, s[30:31]
	s_waitcnt lgkmcnt(0)
	v_add_u32_e32 v2, v29, v2
	ds_bpermute_b32 v2, v23, v2
	s_waitcnt lgkmcnt(0)
	v_cndmask_b32_e64 v2, v2, v29, s[18:19]
	v_cndmask_b32_e64 v2, v2, 0, s[4:5]
	v_add_u32_e32 v6, v2, v6
	v_add_u32_e32 v7, v6, v7
	;; [unrolled: 1-line block ×3, first 2 shown]
	ds_write2_b32 v17, v2, v6 offset0:5 offset1:6
	ds_write2_b32 v17, v7, v1 offset0:7 offset1:8
	s_waitcnt lgkmcnt(0)
	s_barrier
	ds_read_b32 v1, v28 offset:20
	v_lshlrev_b32_e32 v2, 2, v27
	s_waitcnt lgkmcnt(0)
	s_barrier
	v_lshl_add_u32 v1, v1, 2, v2
	ds_write_b32 v1, v26
	s_waitcnt lgkmcnt(0)
	s_barrier
	ds_read_b32 v26, v19
	s_waitcnt lgkmcnt(0)
	s_barrier
	ds_write2_b32 v17, v5, v5 offset0:5 offset1:6
	ds_write2_b32 v17, v5, v5 offset0:7 offset1:8
	v_lshrrev_b32_e32 v1, 8, v26
	v_and_b32_e32 v2, 1, v1
	v_add_co_u32_e64 v6, s[30:31], -1, v2
	v_addc_co_u32_e64 v27, s[30:31], 0, -1, s[30:31]
	v_cmp_ne_u32_e64 s[30:31], 0, v2
	v_xor_b32_e32 v6, s30, v6
	v_xor_b32_e32 v2, s31, v27
	v_and_b32_e32 v27, exec_lo, v6
	v_lshlrev_b32_e32 v6, 30, v1
	v_cmp_gt_i64_e64 s[30:31], 0, v[5:6]
	v_not_b32_e32 v6, v6
	v_ashrrev_i32_e32 v6, 31, v6
	v_xor_b32_e32 v28, s31, v6
	v_xor_b32_e32 v6, s30, v6
	v_and_b32_e32 v27, v27, v6
	v_lshlrev_b32_e32 v6, 29, v1
	v_cmp_gt_i64_e64 s[30:31], 0, v[5:6]
	v_not_b32_e32 v6, v6
	v_and_b32_e32 v2, exec_hi, v2
	v_ashrrev_i32_e32 v6, 31, v6
	v_and_b32_e32 v2, v2, v28
	v_xor_b32_e32 v28, s31, v6
	v_xor_b32_e32 v6, s30, v6
	v_and_b32_e32 v27, v27, v6
	v_lshlrev_b32_e32 v6, 28, v1
	v_cmp_gt_i64_e64 s[30:31], 0, v[5:6]
	v_not_b32_e32 v6, v6
	v_ashrrev_i32_e32 v6, 31, v6
	v_and_b32_e32 v2, v2, v28
	v_xor_b32_e32 v28, s31, v6
	v_xor_b32_e32 v6, s30, v6
	v_and_b32_e32 v27, v27, v6
	v_lshlrev_b32_e32 v6, 27, v1
	v_cmp_gt_i64_e64 s[30:31], 0, v[5:6]
	v_not_b32_e32 v6, v6
	;; [unrolled: 8-line block ×4, first 2 shown]
	v_ashrrev_i32_e32 v6, 31, v6
	v_and_b32_e32 v2, v2, v28
	v_xor_b32_e32 v28, s31, v6
	v_xor_b32_e32 v6, s30, v6
	v_and_b32_e32 v27, v27, v6
	v_lshlrev_b32_e32 v6, 24, v1
	v_mul_u32_u24_sdwa v7, v1, v8 dst_sel:DWORD dst_unused:UNUSED_PAD src0_sel:BYTE_0 src1_sel:DWORD
	v_cmp_gt_i64_e64 s[30:31], 0, v[5:6]
	v_not_b32_e32 v1, v6
	v_ashrrev_i32_e32 v1, 31, v1
	v_xor_b32_e32 v6, s31, v1
	v_xor_b32_e32 v1, s30, v1
	v_and_b32_e32 v2, v2, v28
	v_and_b32_e32 v1, v27, v1
	;; [unrolled: 1-line block ×3, first 2 shown]
	v_mbcnt_lo_u32_b32 v6, v1, 0
	v_mbcnt_hi_u32_b32 v27, v2, v6
	v_cmp_ne_u64_e64 s[30:31], 0, v[1:2]
	v_cmp_eq_u32_e64 s[34:35], 0, v27
	s_and_b64 s[34:35], s[30:31], s[34:35]
	v_add_u32_e32 v28, v24, v7
	s_waitcnt lgkmcnt(0)
	s_barrier
	; wave barrier
	s_and_saveexec_b64 s[30:31], s[34:35]
; %bb.13:                               ;   in Loop: Header=BB36_2 Depth=1
	v_bcnt_u32_b32 v1, v1, 0
	v_bcnt_u32_b32 v1, v2, v1
	ds_write_b32 v28, v1 offset:20
; %bb.14:                               ;   in Loop: Header=BB36_2 Depth=1
	s_or_b64 exec, exec, s[30:31]
	; wave barrier
	s_waitcnt lgkmcnt(0)
	s_barrier
	ds_read2_b32 v[6:7], v17 offset0:5 offset1:6
	ds_read2_b32 v[1:2], v17 offset0:7 offset1:8
	s_waitcnt lgkmcnt(1)
	v_add_u32_e32 v29, v7, v6
	s_waitcnt lgkmcnt(0)
	v_add3_u32 v2, v29, v1, v2
	s_nop 1
	v_mov_b32_dpp v29, v2 row_shr:1 row_mask:0xf bank_mask:0xf
	v_cndmask_b32_e64 v29, v29, 0, s[10:11]
	v_add_u32_e32 v2, v29, v2
	s_nop 1
	v_mov_b32_dpp v29, v2 row_shr:2 row_mask:0xf bank_mask:0xf
	v_cndmask_b32_e64 v29, 0, v29, s[12:13]
	v_add_u32_e32 v2, v2, v29
	;; [unrolled: 4-line block ×4, first 2 shown]
	s_nop 1
	v_mov_b32_dpp v29, v2 row_bcast:15 row_mask:0xf bank_mask:0xf
	v_cndmask_b32_e64 v29, v29, 0, s[20:21]
	v_add_u32_e32 v2, v2, v29
	s_nop 1
	v_mov_b32_dpp v29, v2 row_bcast:31 row_mask:0xf bank_mask:0xf
	v_cndmask_b32_e64 v29, 0, v29, s[8:9]
	v_add_u32_e32 v2, v2, v29
	s_and_saveexec_b64 s[30:31], s[28:29]
; %bb.15:                               ;   in Loop: Header=BB36_2 Depth=1
	ds_write_b32 v18, v2
; %bb.16:                               ;   in Loop: Header=BB36_2 Depth=1
	s_or_b64 exec, exec, s[30:31]
	s_waitcnt lgkmcnt(0)
	s_barrier
	s_and_saveexec_b64 s[30:31], s[0:1]
	s_cbranch_execz .LBB36_18
; %bb.17:                               ;   in Loop: Header=BB36_2 Depth=1
	ds_read_b32 v29, v20
	s_waitcnt lgkmcnt(0)
	s_nop 0
	v_mov_b32_dpp v30, v29 row_shr:1 row_mask:0xf bank_mask:0xf
	v_cndmask_b32_e64 v30, v30, 0, s[22:23]
	v_add_u32_e32 v29, v30, v29
	s_nop 1
	v_mov_b32_dpp v30, v29 row_shr:2 row_mask:0xf bank_mask:0xf
	v_cndmask_b32_e64 v30, 0, v30, s[24:25]
	v_add_u32_e32 v29, v29, v30
	;; [unrolled: 4-line block ×3, first 2 shown]
	ds_write_b32 v20, v29
.LBB36_18:                              ;   in Loop: Header=BB36_2 Depth=1
	s_or_b64 exec, exec, s[30:31]
	v_mov_b32_e32 v29, 0
	s_waitcnt lgkmcnt(0)
	s_barrier
	s_and_saveexec_b64 s[30:31], s[2:3]
; %bb.19:                               ;   in Loop: Header=BB36_2 Depth=1
	ds_read_b32 v29, v21
; %bb.20:                               ;   in Loop: Header=BB36_2 Depth=1
	s_or_b64 exec, exec, s[30:31]
	s_waitcnt lgkmcnt(0)
	v_add_u32_e32 v2, v29, v2
	ds_bpermute_b32 v2, v23, v2
	s_waitcnt lgkmcnt(0)
	v_cndmask_b32_e64 v2, v2, v29, s[18:19]
	v_cndmask_b32_e64 v2, v2, 0, s[4:5]
	v_add_u32_e32 v6, v2, v6
	v_add_u32_e32 v7, v6, v7
	;; [unrolled: 1-line block ×3, first 2 shown]
	ds_write2_b32 v17, v2, v6 offset0:5 offset1:6
	ds_write2_b32 v17, v7, v1 offset0:7 offset1:8
	s_waitcnt lgkmcnt(0)
	s_barrier
	ds_read_b32 v1, v28 offset:20
	v_lshlrev_b32_e32 v2, 2, v27
	s_waitcnt lgkmcnt(0)
	s_barrier
	v_lshl_add_u32 v1, v1, 2, v2
	ds_write_b32 v1, v26
	s_waitcnt lgkmcnt(0)
	s_barrier
	ds_read_b32 v26, v19
	s_waitcnt lgkmcnt(0)
	s_barrier
	ds_write2_b32 v17, v5, v5 offset0:5 offset1:6
	ds_write2_b32 v17, v5, v5 offset0:7 offset1:8
	v_and_b32_sdwa v1, v26, s36 dst_sel:DWORD dst_unused:UNUSED_PAD src0_sel:WORD_1 src1_sel:DWORD
	v_mul_u32_u24_e32 v7, 20, v1
	v_and_b32_sdwa v1, v26, v9 dst_sel:DWORD dst_unused:UNUSED_PAD src0_sel:WORD_1 src1_sel:DWORD
	v_add_co_u32_e64 v2, s[30:31], -1, v1
	v_addc_co_u32_e64 v6, s[30:31], 0, -1, s[30:31]
	v_cmp_ne_u32_e64 s[30:31], 0, v1
	v_xor_b32_e32 v1, s31, v6
	v_lshlrev_b32_sdwa v6, v10, v26 dst_sel:DWORD dst_unused:UNUSED_PAD src0_sel:DWORD src1_sel:WORD_1
	v_xor_b32_e32 v2, s30, v2
	v_cmp_gt_i64_e64 s[30:31], 0, v[5:6]
	v_not_b32_e32 v6, v6
	v_ashrrev_i32_e32 v6, 31, v6
	v_and_b32_e32 v2, exec_lo, v2
	v_xor_b32_e32 v27, s31, v6
	v_xor_b32_e32 v6, s30, v6
	v_and_b32_e32 v2, v2, v6
	v_lshlrev_b32_sdwa v6, v11, v26 dst_sel:DWORD dst_unused:UNUSED_PAD src0_sel:DWORD src1_sel:WORD_1
	v_cmp_gt_i64_e64 s[30:31], 0, v[5:6]
	v_not_b32_e32 v6, v6
	v_and_b32_e32 v1, exec_hi, v1
	v_ashrrev_i32_e32 v6, 31, v6
	v_and_b32_e32 v1, v1, v27
	v_xor_b32_e32 v27, s31, v6
	v_xor_b32_e32 v6, s30, v6
	v_and_b32_e32 v2, v2, v6
	v_lshlrev_b32_sdwa v6, v12, v26 dst_sel:DWORD dst_unused:UNUSED_PAD src0_sel:DWORD src1_sel:WORD_1
	v_cmp_gt_i64_e64 s[30:31], 0, v[5:6]
	v_not_b32_e32 v6, v6
	v_ashrrev_i32_e32 v6, 31, v6
	v_and_b32_e32 v1, v1, v27
	v_xor_b32_e32 v27, s31, v6
	v_xor_b32_e32 v6, s30, v6
	v_and_b32_e32 v2, v2, v6
	v_lshlrev_b32_sdwa v6, v13, v26 dst_sel:DWORD dst_unused:UNUSED_PAD src0_sel:DWORD src1_sel:WORD_1
	v_cmp_gt_i64_e64 s[30:31], 0, v[5:6]
	v_not_b32_e32 v6, v6
	;; [unrolled: 8-line block ×4, first 2 shown]
	v_ashrrev_i32_e32 v6, 31, v6
	v_and_b32_e32 v1, v1, v27
	v_xor_b32_e32 v27, s31, v6
	v_xor_b32_e32 v6, s30, v6
	v_and_b32_e32 v1, v1, v27
	v_and_b32_e32 v27, v2, v6
	v_lshlrev_b32_sdwa v6, v25, v26 dst_sel:DWORD dst_unused:UNUSED_PAD src0_sel:DWORD src1_sel:WORD_1
	v_cmp_gt_i64_e64 s[30:31], 0, v[5:6]
	v_not_b32_e32 v2, v6
	v_ashrrev_i32_e32 v2, 31, v2
	v_xor_b32_e32 v6, s31, v2
	v_xor_b32_e32 v28, s30, v2
	v_and_b32_e32 v2, v1, v6
	v_and_b32_e32 v1, v27, v28
	v_mbcnt_lo_u32_b32 v6, v1, 0
	v_mbcnt_hi_u32_b32 v27, v2, v6
	v_cmp_ne_u64_e64 s[30:31], 0, v[1:2]
	v_cmp_eq_u32_e64 s[34:35], 0, v27
	s_and_b64 s[34:35], s[30:31], s[34:35]
	v_add_u32_e32 v28, v24, v7
	s_waitcnt lgkmcnt(0)
	s_barrier
	; wave barrier
	s_and_saveexec_b64 s[30:31], s[34:35]
; %bb.21:                               ;   in Loop: Header=BB36_2 Depth=1
	v_bcnt_u32_b32 v1, v1, 0
	v_bcnt_u32_b32 v1, v2, v1
	ds_write_b32 v28, v1 offset:20
; %bb.22:                               ;   in Loop: Header=BB36_2 Depth=1
	s_or_b64 exec, exec, s[30:31]
	; wave barrier
	s_waitcnt lgkmcnt(0)
	s_barrier
	ds_read2_b32 v[6:7], v17 offset0:5 offset1:6
	ds_read2_b32 v[1:2], v17 offset0:7 offset1:8
	s_waitcnt lgkmcnt(1)
	v_add_u32_e32 v29, v7, v6
	s_waitcnt lgkmcnt(0)
	v_add3_u32 v2, v29, v1, v2
	s_nop 1
	v_mov_b32_dpp v29, v2 row_shr:1 row_mask:0xf bank_mask:0xf
	v_cndmask_b32_e64 v29, v29, 0, s[10:11]
	v_add_u32_e32 v2, v29, v2
	s_nop 1
	v_mov_b32_dpp v29, v2 row_shr:2 row_mask:0xf bank_mask:0xf
	v_cndmask_b32_e64 v29, 0, v29, s[12:13]
	v_add_u32_e32 v2, v2, v29
	;; [unrolled: 4-line block ×4, first 2 shown]
	s_nop 1
	v_mov_b32_dpp v29, v2 row_bcast:15 row_mask:0xf bank_mask:0xf
	v_cndmask_b32_e64 v29, v29, 0, s[20:21]
	v_add_u32_e32 v2, v2, v29
	s_nop 1
	v_mov_b32_dpp v29, v2 row_bcast:31 row_mask:0xf bank_mask:0xf
	v_cndmask_b32_e64 v29, 0, v29, s[8:9]
	v_add_u32_e32 v2, v2, v29
	s_and_saveexec_b64 s[30:31], s[28:29]
; %bb.23:                               ;   in Loop: Header=BB36_2 Depth=1
	ds_write_b32 v18, v2
; %bb.24:                               ;   in Loop: Header=BB36_2 Depth=1
	s_or_b64 exec, exec, s[30:31]
	s_waitcnt lgkmcnt(0)
	s_barrier
	s_and_saveexec_b64 s[30:31], s[0:1]
	s_cbranch_execz .LBB36_26
; %bb.25:                               ;   in Loop: Header=BB36_2 Depth=1
	ds_read_b32 v29, v20
	s_waitcnt lgkmcnt(0)
	s_nop 0
	v_mov_b32_dpp v30, v29 row_shr:1 row_mask:0xf bank_mask:0xf
	v_cndmask_b32_e64 v30, v30, 0, s[22:23]
	v_add_u32_e32 v29, v30, v29
	s_nop 1
	v_mov_b32_dpp v30, v29 row_shr:2 row_mask:0xf bank_mask:0xf
	v_cndmask_b32_e64 v30, 0, v30, s[24:25]
	v_add_u32_e32 v29, v29, v30
	;; [unrolled: 4-line block ×3, first 2 shown]
	ds_write_b32 v20, v29
.LBB36_26:                              ;   in Loop: Header=BB36_2 Depth=1
	s_or_b64 exec, exec, s[30:31]
	v_mov_b32_e32 v29, 0
	s_waitcnt lgkmcnt(0)
	s_barrier
	s_and_saveexec_b64 s[30:31], s[2:3]
; %bb.27:                               ;   in Loop: Header=BB36_2 Depth=1
	ds_read_b32 v29, v21
; %bb.28:                               ;   in Loop: Header=BB36_2 Depth=1
	s_or_b64 exec, exec, s[30:31]
	s_waitcnt lgkmcnt(0)
	v_add_u32_e32 v2, v29, v2
	ds_bpermute_b32 v2, v23, v2
	s_waitcnt lgkmcnt(0)
	v_cndmask_b32_e64 v2, v2, v29, s[18:19]
	v_cndmask_b32_e64 v2, v2, 0, s[4:5]
	v_add_u32_e32 v6, v2, v6
	v_add_u32_e32 v7, v6, v7
	v_add_u32_e32 v1, v7, v1
	ds_write2_b32 v17, v2, v6 offset0:5 offset1:6
	ds_write2_b32 v17, v7, v1 offset0:7 offset1:8
	s_waitcnt lgkmcnt(0)
	s_barrier
	ds_read_b32 v1, v28 offset:20
	v_lshlrev_b32_e32 v2, 2, v27
	s_waitcnt lgkmcnt(0)
	s_barrier
	v_lshl_add_u32 v1, v1, 2, v2
	ds_write_b32 v1, v26
	s_waitcnt lgkmcnt(0)
	s_barrier
	ds_read_b32 v26, v19
	s_waitcnt lgkmcnt(0)
	s_barrier
	ds_write2_b32 v17, v5, v5 offset0:5 offset1:6
	ds_write2_b32 v17, v5, v5 offset0:7 offset1:8
	v_and_b32_sdwa v1, v26, v9 dst_sel:DWORD dst_unused:UNUSED_PAD src0_sel:BYTE_3 src1_sel:DWORD
	v_add_co_u32_e64 v2, s[30:31], -1, v1
	v_addc_co_u32_e64 v6, s[30:31], 0, -1, s[30:31]
	v_cmp_ne_u32_e64 s[30:31], 0, v1
	v_xor_b32_e32 v1, s31, v6
	v_lshlrev_b32_sdwa v6, v10, v26 dst_sel:DWORD dst_unused:UNUSED_PAD src0_sel:DWORD src1_sel:BYTE_3
	v_xor_b32_e32 v2, s30, v2
	v_cmp_gt_i64_e64 s[30:31], 0, v[5:6]
	v_not_b32_e32 v6, v6
	v_ashrrev_i32_e32 v6, 31, v6
	v_and_b32_e32 v2, exec_lo, v2
	v_xor_b32_e32 v27, s31, v6
	v_xor_b32_e32 v6, s30, v6
	v_and_b32_e32 v2, v2, v6
	v_lshlrev_b32_sdwa v6, v11, v26 dst_sel:DWORD dst_unused:UNUSED_PAD src0_sel:DWORD src1_sel:BYTE_3
	v_cmp_gt_i64_e64 s[30:31], 0, v[5:6]
	v_not_b32_e32 v6, v6
	v_and_b32_e32 v1, exec_hi, v1
	v_ashrrev_i32_e32 v6, 31, v6
	v_and_b32_e32 v1, v1, v27
	v_xor_b32_e32 v27, s31, v6
	v_xor_b32_e32 v6, s30, v6
	v_and_b32_e32 v2, v2, v6
	v_lshlrev_b32_sdwa v6, v12, v26 dst_sel:DWORD dst_unused:UNUSED_PAD src0_sel:DWORD src1_sel:BYTE_3
	v_cmp_gt_i64_e64 s[30:31], 0, v[5:6]
	v_not_b32_e32 v6, v6
	v_ashrrev_i32_e32 v6, 31, v6
	v_and_b32_e32 v1, v1, v27
	v_xor_b32_e32 v27, s31, v6
	v_xor_b32_e32 v6, s30, v6
	v_and_b32_e32 v2, v2, v6
	v_lshlrev_b32_sdwa v6, v13, v26 dst_sel:DWORD dst_unused:UNUSED_PAD src0_sel:DWORD src1_sel:BYTE_3
	v_cmp_gt_i64_e64 s[30:31], 0, v[5:6]
	v_not_b32_e32 v6, v6
	;; [unrolled: 8-line block ×4, first 2 shown]
	v_ashrrev_i32_e32 v6, 31, v6
	v_and_b32_e32 v1, v1, v27
	v_xor_b32_e32 v27, s31, v6
	v_xor_b32_e32 v6, s30, v6
	v_and_b32_e32 v1, v1, v27
	v_and_b32_e32 v27, v2, v6
	v_lshlrev_b32_sdwa v6, v25, v26 dst_sel:DWORD dst_unused:UNUSED_PAD src0_sel:DWORD src1_sel:BYTE_3
	v_cmp_gt_i64_e64 s[30:31], 0, v[5:6]
	v_not_b32_e32 v2, v6
	v_ashrrev_i32_e32 v2, 31, v2
	v_xor_b32_e32 v6, s31, v2
	v_xor_b32_e32 v28, s30, v2
	v_and_b32_e32 v2, v1, v6
	v_and_b32_e32 v1, v27, v28
	v_mbcnt_lo_u32_b32 v6, v1, 0
	v_mbcnt_hi_u32_b32 v27, v2, v6
	v_cmp_ne_u64_e64 s[30:31], 0, v[1:2]
	v_mul_u32_u24_sdwa v7, v26, v8 dst_sel:DWORD dst_unused:UNUSED_PAD src0_sel:BYTE_3 src1_sel:DWORD
	v_cmp_eq_u32_e64 s[34:35], 0, v27
	s_and_b64 s[34:35], s[30:31], s[34:35]
	v_add_u32_e32 v28, v24, v7
	s_waitcnt lgkmcnt(0)
	s_barrier
	; wave barrier
	s_and_saveexec_b64 s[30:31], s[34:35]
; %bb.29:                               ;   in Loop: Header=BB36_2 Depth=1
	v_bcnt_u32_b32 v1, v1, 0
	v_bcnt_u32_b32 v1, v2, v1
	ds_write_b32 v28, v1 offset:20
; %bb.30:                               ;   in Loop: Header=BB36_2 Depth=1
	s_or_b64 exec, exec, s[30:31]
	; wave barrier
	s_waitcnt lgkmcnt(0)
	s_barrier
	ds_read2_b32 v[6:7], v17 offset0:5 offset1:6
	ds_read2_b32 v[1:2], v17 offset0:7 offset1:8
	s_waitcnt lgkmcnt(1)
	v_add_u32_e32 v29, v7, v6
	s_waitcnt lgkmcnt(0)
	v_add3_u32 v2, v29, v1, v2
	s_nop 1
	v_mov_b32_dpp v29, v2 row_shr:1 row_mask:0xf bank_mask:0xf
	v_cndmask_b32_e64 v29, v29, 0, s[10:11]
	v_add_u32_e32 v2, v29, v2
	s_nop 1
	v_mov_b32_dpp v29, v2 row_shr:2 row_mask:0xf bank_mask:0xf
	v_cndmask_b32_e64 v29, 0, v29, s[12:13]
	v_add_u32_e32 v2, v2, v29
	;; [unrolled: 4-line block ×4, first 2 shown]
	s_nop 1
	v_mov_b32_dpp v29, v2 row_bcast:15 row_mask:0xf bank_mask:0xf
	v_cndmask_b32_e64 v29, v29, 0, s[20:21]
	v_add_u32_e32 v2, v2, v29
	s_nop 1
	v_mov_b32_dpp v29, v2 row_bcast:31 row_mask:0xf bank_mask:0xf
	v_cndmask_b32_e64 v29, 0, v29, s[8:9]
	v_add_u32_e32 v2, v2, v29
	s_and_saveexec_b64 s[30:31], s[28:29]
; %bb.31:                               ;   in Loop: Header=BB36_2 Depth=1
	ds_write_b32 v18, v2
; %bb.32:                               ;   in Loop: Header=BB36_2 Depth=1
	s_or_b64 exec, exec, s[30:31]
	s_waitcnt lgkmcnt(0)
	s_barrier
	s_and_saveexec_b64 s[30:31], s[0:1]
	s_cbranch_execz .LBB36_34
; %bb.33:                               ;   in Loop: Header=BB36_2 Depth=1
	ds_read_b32 v29, v20
	s_waitcnt lgkmcnt(0)
	s_nop 0
	v_mov_b32_dpp v30, v29 row_shr:1 row_mask:0xf bank_mask:0xf
	v_cndmask_b32_e64 v30, v30, 0, s[22:23]
	v_add_u32_e32 v29, v30, v29
	s_nop 1
	v_mov_b32_dpp v30, v29 row_shr:2 row_mask:0xf bank_mask:0xf
	v_cndmask_b32_e64 v30, 0, v30, s[24:25]
	v_add_u32_e32 v29, v29, v30
	;; [unrolled: 4-line block ×3, first 2 shown]
	ds_write_b32 v20, v29
.LBB36_34:                              ;   in Loop: Header=BB36_2 Depth=1
	s_or_b64 exec, exec, s[30:31]
	v_mov_b32_e32 v29, 0
	s_waitcnt lgkmcnt(0)
	s_barrier
	s_and_saveexec_b64 s[30:31], s[2:3]
; %bb.35:                               ;   in Loop: Header=BB36_2 Depth=1
	ds_read_b32 v29, v21
; %bb.36:                               ;   in Loop: Header=BB36_2 Depth=1
	s_or_b64 exec, exec, s[30:31]
	s_waitcnt lgkmcnt(0)
	v_add_u32_e32 v2, v29, v2
	ds_bpermute_b32 v2, v23, v2
	s_waitcnt lgkmcnt(0)
	v_cndmask_b32_e64 v2, v2, v29, s[18:19]
	v_cndmask_b32_e64 v2, v2, 0, s[4:5]
	v_add_u32_e32 v6, v2, v6
	v_add_u32_e32 v7, v6, v7
	;; [unrolled: 1-line block ×3, first 2 shown]
	ds_write2_b32 v17, v2, v6 offset0:5 offset1:6
	ds_write2_b32 v17, v7, v1 offset0:7 offset1:8
	s_waitcnt lgkmcnt(0)
	s_barrier
	ds_read_b32 v1, v28 offset:20
	v_lshlrev_b32_e32 v2, 2, v27
	s_waitcnt lgkmcnt(0)
	s_barrier
	v_lshl_add_u32 v1, v1, 2, v2
	ds_write_b32 v1, v26
	s_waitcnt lgkmcnt(0)
	s_barrier
	ds_read_b32 v26, v20
	s_waitcnt lgkmcnt(0)
	s_barrier
	s_and_saveexec_b64 s[30:31], vcc
; %bb.37:                               ;   in Loop: Header=BB36_2 Depth=1
	v_mov_b32_e32 v1, 0x140
	ds_write2st64_b32 v20, v1, v1 offset0:10 offset1:15
; %bb.38:                               ;   in Loop: Header=BB36_2 Depth=1
	s_or_b64 exec, exec, s[30:31]
	v_xor_b32_e32 v1, 0x80000000, v26
	s_waitcnt lgkmcnt(0)
	s_barrier
	ds_write_b32 v20, v1
	s_waitcnt lgkmcnt(0)
	s_barrier
	s_and_saveexec_b64 s[34:35], s[6:7]
	s_cbranch_execz .LBB36_41
; %bb.39:                               ;   in Loop: Header=BB36_2 Depth=1
	ds_read_b32 v2, v22
	s_waitcnt lgkmcnt(0)
	v_cmp_ne_u32_e64 s[30:31], v2, v1
	s_and_b64 exec, exec, s[30:31]
	s_cbranch_execz .LBB36_41
; %bb.40:                               ;   in Loop: Header=BB36_2 Depth=1
	v_lshlrev_b32_e32 v2, 2, v1
	ds_write_b32 v2, v0 offset:2560
	ds_read_b32 v2, v22
	s_waitcnt lgkmcnt(0)
	v_lshlrev_b32_e32 v2, 2, v2
	ds_write_b32 v2, v0 offset:3840
.LBB36_41:                              ;   in Loop: Header=BB36_2 Depth=1
	s_or_b64 exec, exec, s[34:35]
	s_waitcnt lgkmcnt(0)
	s_barrier
	s_and_saveexec_b64 s[30:31], s[4:5]
; %bb.42:                               ;   in Loop: Header=BB36_2 Depth=1
	v_lshlrev_b32_e32 v1, 2, v1
	ds_write_b32 v1, v5 offset:2560
; %bb.43:                               ;   in Loop: Header=BB36_2 Depth=1
	s_or_b64 exec, exec, s[30:31]
	s_waitcnt lgkmcnt(0)
	s_barrier
	s_and_saveexec_b64 s[30:31], vcc
	s_cbranch_execz .LBB36_1
; %bb.44:                               ;   in Loop: Header=BB36_2 Depth=1
	ds_read2st64_b32 v[1:2], v20 offset0:10 offset1:15
	ds_read_b32 v6, v15
	s_waitcnt lgkmcnt(1)
	v_sub_u32_e32 v1, v2, v1
	s_waitcnt lgkmcnt(0)
	v_add_u32_e32 v1, v1, v6
	ds_write_b32 v15, v1
	s_branch .LBB36_1
.LBB36_45:
	s_and_saveexec_b64 s[0:1], vcc
	s_cbranch_execz .LBB36_47
; %bb.46:
	ds_read_b32 v2, v15
	v_mov_b32_e32 v1, s39
	v_add_co_u32_e32 v0, vcc, s38, v3
	v_addc_co_u32_e32 v1, vcc, v1, v4, vcc
	s_waitcnt lgkmcnt(0)
	global_store_dword v[0:1], v2, off
.LBB36_47:
	s_endpgm
	.section	.rodata,"a",@progbits
	.p2align	6, 0x0
	.amdhsa_kernel _Z6kernelI9histogramILN6hipcub23BlockHistogramAlgorithmE1EEiLj320ELj1ELj320ELj100EEvPKT0_PS4_
		.amdhsa_group_segment_fixed_size 6432
		.amdhsa_private_segment_fixed_size 0
		.amdhsa_kernarg_size 272
		.amdhsa_user_sgpr_count 6
		.amdhsa_user_sgpr_private_segment_buffer 1
		.amdhsa_user_sgpr_dispatch_ptr 0
		.amdhsa_user_sgpr_queue_ptr 0
		.amdhsa_user_sgpr_kernarg_segment_ptr 1
		.amdhsa_user_sgpr_dispatch_id 0
		.amdhsa_user_sgpr_flat_scratch_init 0
		.amdhsa_user_sgpr_private_segment_size 0
		.amdhsa_uses_dynamic_stack 0
		.amdhsa_system_sgpr_private_segment_wavefront_offset 0
		.amdhsa_system_sgpr_workgroup_id_x 1
		.amdhsa_system_sgpr_workgroup_id_y 0
		.amdhsa_system_sgpr_workgroup_id_z 0
		.amdhsa_system_sgpr_workgroup_info 0
		.amdhsa_system_vgpr_workitem_id 2
		.amdhsa_next_free_vgpr 31
		.amdhsa_next_free_sgpr 40
		.amdhsa_reserve_vcc 1
		.amdhsa_reserve_flat_scratch 0
		.amdhsa_float_round_mode_32 0
		.amdhsa_float_round_mode_16_64 0
		.amdhsa_float_denorm_mode_32 3
		.amdhsa_float_denorm_mode_16_64 3
		.amdhsa_dx10_clamp 1
		.amdhsa_ieee_mode 1
		.amdhsa_fp16_overflow 0
		.amdhsa_exception_fp_ieee_invalid_op 0
		.amdhsa_exception_fp_denorm_src 0
		.amdhsa_exception_fp_ieee_div_zero 0
		.amdhsa_exception_fp_ieee_overflow 0
		.amdhsa_exception_fp_ieee_underflow 0
		.amdhsa_exception_fp_ieee_inexact 0
		.amdhsa_exception_int_div_zero 0
	.end_amdhsa_kernel
	.section	.text._Z6kernelI9histogramILN6hipcub23BlockHistogramAlgorithmE1EEiLj320ELj1ELj320ELj100EEvPKT0_PS4_,"axG",@progbits,_Z6kernelI9histogramILN6hipcub23BlockHistogramAlgorithmE1EEiLj320ELj1ELj320ELj100EEvPKT0_PS4_,comdat
.Lfunc_end36:
	.size	_Z6kernelI9histogramILN6hipcub23BlockHistogramAlgorithmE1EEiLj320ELj1ELj320ELj100EEvPKT0_PS4_, .Lfunc_end36-_Z6kernelI9histogramILN6hipcub23BlockHistogramAlgorithmE1EEiLj320ELj1ELj320ELj100EEvPKT0_PS4_
                                        ; -- End function
	.set _Z6kernelI9histogramILN6hipcub23BlockHistogramAlgorithmE1EEiLj320ELj1ELj320ELj100EEvPKT0_PS4_.num_vgpr, 31
	.set _Z6kernelI9histogramILN6hipcub23BlockHistogramAlgorithmE1EEiLj320ELj1ELj320ELj100EEvPKT0_PS4_.num_agpr, 0
	.set _Z6kernelI9histogramILN6hipcub23BlockHistogramAlgorithmE1EEiLj320ELj1ELj320ELj100EEvPKT0_PS4_.numbered_sgpr, 40
	.set _Z6kernelI9histogramILN6hipcub23BlockHistogramAlgorithmE1EEiLj320ELj1ELj320ELj100EEvPKT0_PS4_.num_named_barrier, 0
	.set _Z6kernelI9histogramILN6hipcub23BlockHistogramAlgorithmE1EEiLj320ELj1ELj320ELj100EEvPKT0_PS4_.private_seg_size, 0
	.set _Z6kernelI9histogramILN6hipcub23BlockHistogramAlgorithmE1EEiLj320ELj1ELj320ELj100EEvPKT0_PS4_.uses_vcc, 1
	.set _Z6kernelI9histogramILN6hipcub23BlockHistogramAlgorithmE1EEiLj320ELj1ELj320ELj100EEvPKT0_PS4_.uses_flat_scratch, 0
	.set _Z6kernelI9histogramILN6hipcub23BlockHistogramAlgorithmE1EEiLj320ELj1ELj320ELj100EEvPKT0_PS4_.has_dyn_sized_stack, 0
	.set _Z6kernelI9histogramILN6hipcub23BlockHistogramAlgorithmE1EEiLj320ELj1ELj320ELj100EEvPKT0_PS4_.has_recursion, 0
	.set _Z6kernelI9histogramILN6hipcub23BlockHistogramAlgorithmE1EEiLj320ELj1ELj320ELj100EEvPKT0_PS4_.has_indirect_call, 0
	.section	.AMDGPU.csdata,"",@progbits
; Kernel info:
; codeLenInByte = 4300
; TotalNumSgprs: 44
; NumVgprs: 31
; ScratchSize: 0
; MemoryBound: 0
; FloatMode: 240
; IeeeMode: 1
; LDSByteSize: 6432 bytes/workgroup (compile time only)
; SGPRBlocks: 5
; VGPRBlocks: 7
; NumSGPRsForWavesPerEU: 44
; NumVGPRsForWavesPerEU: 31
; Occupancy: 8
; WaveLimiterHint : 0
; COMPUTE_PGM_RSRC2:SCRATCH_EN: 0
; COMPUTE_PGM_RSRC2:USER_SGPR: 6
; COMPUTE_PGM_RSRC2:TRAP_HANDLER: 0
; COMPUTE_PGM_RSRC2:TGID_X_EN: 1
; COMPUTE_PGM_RSRC2:TGID_Y_EN: 0
; COMPUTE_PGM_RSRC2:TGID_Z_EN: 0
; COMPUTE_PGM_RSRC2:TIDIG_COMP_CNT: 2
	.section	.text._Z6kernelI9histogramILN6hipcub23BlockHistogramAlgorithmE1EEiLj320ELj2ELj320ELj100EEvPKT0_PS4_,"axG",@progbits,_Z6kernelI9histogramILN6hipcub23BlockHistogramAlgorithmE1EEiLj320ELj2ELj320ELj100EEvPKT0_PS4_,comdat
	.protected	_Z6kernelI9histogramILN6hipcub23BlockHistogramAlgorithmE1EEiLj320ELj2ELj320ELj100EEvPKT0_PS4_ ; -- Begin function _Z6kernelI9histogramILN6hipcub23BlockHistogramAlgorithmE1EEiLj320ELj2ELj320ELj100EEvPKT0_PS4_
	.globl	_Z6kernelI9histogramILN6hipcub23BlockHistogramAlgorithmE1EEiLj320ELj2ELj320ELj100EEvPKT0_PS4_
	.p2align	8
	.type	_Z6kernelI9histogramILN6hipcub23BlockHistogramAlgorithmE1EEiLj320ELj2ELj320ELj100EEvPKT0_PS4_,@function
_Z6kernelI9histogramILN6hipcub23BlockHistogramAlgorithmE1EEiLj320ELj2ELj320ELj100EEvPKT0_PS4_: ; @_Z6kernelI9histogramILN6hipcub23BlockHistogramAlgorithmE1EEiLj320ELj2ELj320ELj100EEvPKT0_PS4_
; %bb.0:
	s_mulk_i32 s6, 0x140
	s_load_dwordx4 s[36:39], s[4:5], 0x0
	s_load_dword s7, s[4:5], 0x1c
	v_add_u32_e32 v3, s6, v0
	v_mov_b32_e32 v4, 0
	v_lshlrev_b32_e32 v5, 1, v3
	v_mov_b32_e32 v6, v4
	v_lshlrev_b64 v[5:6], 2, v[5:6]
	s_waitcnt lgkmcnt(0)
	v_mov_b32_e32 v7, s37
	v_add_co_u32_e32 v5, vcc, s36, v5
	v_addc_co_u32_e32 v6, vcc, v7, v6, vcc
	global_load_dwordx2 v[5:6], v[5:6], off
	v_mbcnt_lo_u32_b32 v7, -1, 0
	s_lshr_b32 s4, s7, 16
	v_mbcnt_hi_u32_b32 v10, -1, v7
	s_and_b32 s5, s7, 0xffff
	v_mad_u32_u24 v1, v2, s4, v1
	v_mad_u64_u32 v[1:2], s[4:5], v1, s5, v[0:1]
	v_and_b32_e32 v11, 15, v10
	v_cmp_eq_u32_e64 s[4:5], 0, v11
	v_cmp_lt_u32_e64 s[6:7], 1, v11
	v_cmp_lt_u32_e64 s[8:9], 3, v11
	;; [unrolled: 1-line block ×3, first 2 shown]
	v_and_b32_e32 v11, 16, v10
	v_cmp_eq_u32_e64 s[12:13], 0, v11
	v_and_b32_e32 v11, 0x1c0, v0
	v_min_u32_e32 v11, 0x100, v11
	v_or_b32_e32 v11, 63, v11
	v_and_b32_e32 v9, 64, v10
	v_cmp_eq_u32_e64 s[16:17], v0, v11
	v_subrev_co_u32_e64 v11, s[22:23], 1, v10
	s_movk_i32 s0, 0x140
	v_lshrrev_b32_e32 v7, 1, v10
	v_lshlrev_b32_e32 v2, 4, v0
	v_cmp_lt_i32_e32 vcc, v11, v9
	v_and_b32_e32 v13, 7, v10
	v_lshlrev_b32_e32 v14, 3, v0
	v_cmp_gt_u32_e64 s[0:1], s0, v0
	v_or_b32_e32 v7, v7, v9
	v_cmp_gt_u32_e64 s[18:19], 5, v0
	v_cmp_lt_u32_e64 s[20:21], 63, v0
	v_cndmask_b32_e32 v9, v11, v10, vcc
	v_cmp_eq_u32_e64 s[24:25], 0, v0
	v_cmp_ne_u32_e64 s[26:27], 0, v0
	v_lshrrev_b32_e32 v11, 4, v0
	v_mad_i32_i24 v12, v0, -12, v2
	v_cmp_eq_u32_e64 s[28:29], 0, v13
	v_cmp_lt_u32_e64 s[30:31], 1, v13
	v_cmp_lt_u32_e64 s[34:35], 3, v13
	v_lshlrev_b32_e32 v13, 1, v0
	v_and_b32_e32 v14, 0xe00, v14
	v_lshlrev_b32_e32 v0, 2, v0
	v_and_b32_e32 v8, 1, v10
	v_lshlrev_b32_e32 v7, 2, v7
	v_cmp_lt_u32_e64 s[14:15], 31, v10
	v_lshl_or_b32 v14, v10, 2, v14
	v_add_u32_e32 v15, v12, v0
	v_add_u32_e32 v10, 0x1420, v0
	v_sub_u32_e32 v0, 0, v0
	v_lshrrev_b32_e32 v1, 4, v1
	s_mov_b32 s33, 0
	v_cmp_eq_u32_e64 s[2:3], 0, v8
	v_xor_b32_e32 v8, 0x80, v7
	v_lshlrev_b32_e32 v9, 2, v9
	v_and_b32_e32 v11, 28, v11
	v_or_b32_e32 v16, 1, v13
	v_and_b32_e32 v17, 0xffffffc, v1
	v_add_u32_e32 v18, v15, v0
	v_add_u32_e32 v19, -4, v12
	v_mov_b32_e32 v20, 20
	s_branch .LBB37_2
.LBB37_1:                               ;   in Loop: Header=BB37_2 Depth=1
	s_or_b64 exec, exec, s[36:37]
	s_add_i32 s33, s33, 1
	s_cmpk_lg_i32 s33, 0x64
	s_cbranch_scc0 .LBB37_29
.LBB37_2:                               ; =>This Loop Header: Depth=1
                                        ;     Child Loop BB37_6 Depth 2
	s_and_saveexec_b64 s[36:37], s[0:1]
; %bb.3:                                ;   in Loop: Header=BB37_2 Depth=1
	ds_write_b32 v10, v4
; %bb.4:                                ;   in Loop: Header=BB37_2 Depth=1
	s_or_b64 exec, exec, s[36:37]
	s_waitcnt vmcnt(0)
	v_xor_b32_e32 v0, 0x80000000, v5
	v_xor_b32_e32 v1, 0x80000000, v6
	ds_bpermute_b32 v5, v7, v0
	ds_bpermute_b32 v6, v7, v1
	;; [unrolled: 1-line block ×4, first 2 shown]
	v_mov_b32_e32 v22, 0
	s_waitcnt lgkmcnt(0)
	v_cndmask_b32_e64 v0, v6, v5, s[2:3]
	s_barrier
	v_cndmask_b32_e64 v1, v1, v21, s[2:3]
	s_barrier
	s_branch .LBB37_6
.LBB37_5:                               ;   in Loop: Header=BB37_6 Depth=2
	s_andn2_b64 vcc, exec, s[36:37]
	s_cbranch_vccz .LBB37_18
.LBB37_6:                               ;   Parent Loop BB37_2 Depth=1
                                        ; =>  This Inner Loop Header: Depth=2
	v_mov_b32_e32 v23, v0
	v_lshrrev_b32_e32 v0, v22, v23
	v_mov_b32_e32 v21, v1
	v_and_b32_e32 v1, 1, v0
	v_add_co_u32_e32 v5, vcc, -1, v1
	v_addc_co_u32_e64 v24, s[36:37], 0, -1, vcc
	v_cmp_ne_u32_e32 vcc, 0, v1
	v_xor_b32_e32 v5, vcc_lo, v5
	v_xor_b32_e32 v1, vcc_hi, v24
	v_and_b32_e32 v24, exec_lo, v5
	v_lshlrev_b32_e32 v5, 30, v0
	v_cmp_gt_i64_e32 vcc, 0, v[4:5]
	v_not_b32_e32 v5, v5
	v_ashrrev_i32_e32 v5, 31, v5
	v_xor_b32_e32 v25, vcc_hi, v5
	v_xor_b32_e32 v5, vcc_lo, v5
	v_and_b32_e32 v24, v24, v5
	v_lshlrev_b32_e32 v5, 29, v0
	v_cmp_gt_i64_e32 vcc, 0, v[4:5]
	v_not_b32_e32 v5, v5
	v_and_b32_e32 v1, exec_hi, v1
	v_ashrrev_i32_e32 v5, 31, v5
	v_and_b32_e32 v1, v1, v25
	v_xor_b32_e32 v25, vcc_hi, v5
	v_xor_b32_e32 v5, vcc_lo, v5
	v_and_b32_e32 v24, v24, v5
	v_lshlrev_b32_e32 v5, 28, v0
	v_cmp_gt_i64_e32 vcc, 0, v[4:5]
	v_not_b32_e32 v5, v5
	v_ashrrev_i32_e32 v5, 31, v5
	v_and_b32_e32 v1, v1, v25
	v_xor_b32_e32 v25, vcc_hi, v5
	v_xor_b32_e32 v5, vcc_lo, v5
	v_and_b32_e32 v24, v24, v5
	v_lshlrev_b32_e32 v5, 27, v0
	v_cmp_gt_i64_e32 vcc, 0, v[4:5]
	v_not_b32_e32 v5, v5
	;; [unrolled: 8-line block ×4, first 2 shown]
	v_ashrrev_i32_e32 v5, 31, v5
	v_and_b32_e32 v1, v1, v25
	v_xor_b32_e32 v25, vcc_hi, v5
	v_xor_b32_e32 v5, vcc_lo, v5
	v_and_b32_e32 v24, v24, v5
	v_lshlrev_b32_e32 v5, 24, v0
	v_mul_u32_u24_sdwa v6, v0, v20 dst_sel:DWORD dst_unused:UNUSED_PAD src0_sel:BYTE_0 src1_sel:DWORD
	v_cmp_gt_i64_e32 vcc, 0, v[4:5]
	v_not_b32_e32 v0, v5
	v_ashrrev_i32_e32 v0, 31, v0
	v_xor_b32_e32 v5, vcc_hi, v0
	v_xor_b32_e32 v0, vcc_lo, v0
	v_and_b32_e32 v1, v1, v25
	v_and_b32_e32 v0, v24, v0
	v_and_b32_e32 v1, v1, v5
	v_mbcnt_lo_u32_b32 v5, v0, 0
	v_mbcnt_hi_u32_b32 v24, v1, v5
	v_cmp_ne_u64_e32 vcc, 0, v[0:1]
	v_cmp_eq_u32_e64 s[36:37], 0, v24
	s_and_b64 s[40:41], vcc, s[36:37]
	v_add_u32_e32 v25, v17, v6
	ds_write2_b32 v2, v4, v4 offset0:5 offset1:6
	ds_write2_b32 v2, v4, v4 offset0:7 offset1:8
	s_waitcnt lgkmcnt(0)
	s_barrier
	; wave barrier
	s_and_saveexec_b64 s[36:37], s[40:41]
; %bb.7:                                ;   in Loop: Header=BB37_6 Depth=2
	v_bcnt_u32_b32 v0, v0, 0
	v_bcnt_u32_b32 v0, v1, v0
	ds_write_b32 v25, v0 offset:20
; %bb.8:                                ;   in Loop: Header=BB37_6 Depth=2
	s_or_b64 exec, exec, s[36:37]
	v_lshrrev_b32_e32 v0, v22, v21
	v_and_b32_e32 v1, 0xff, v0
	v_mul_u32_u24_e32 v6, 20, v1
	v_mad_u32_u24 v1, v1, 20, v17
	; wave barrier
	ds_read_b32 v26, v1 offset:20
	v_and_b32_e32 v1, 1, v0
	v_add_co_u32_e32 v5, vcc, -1, v1
	v_addc_co_u32_e64 v27, s[36:37], 0, -1, vcc
	v_cmp_ne_u32_e32 vcc, 0, v1
	v_xor_b32_e32 v5, vcc_lo, v5
	v_xor_b32_e32 v1, vcc_hi, v27
	v_and_b32_e32 v27, exec_lo, v5
	v_lshlrev_b32_e32 v5, 30, v0
	v_cmp_gt_i64_e32 vcc, 0, v[4:5]
	v_not_b32_e32 v5, v5
	v_ashrrev_i32_e32 v5, 31, v5
	v_xor_b32_e32 v28, vcc_hi, v5
	v_xor_b32_e32 v5, vcc_lo, v5
	v_and_b32_e32 v27, v27, v5
	v_lshlrev_b32_e32 v5, 29, v0
	v_cmp_gt_i64_e32 vcc, 0, v[4:5]
	v_not_b32_e32 v5, v5
	v_and_b32_e32 v1, exec_hi, v1
	v_ashrrev_i32_e32 v5, 31, v5
	v_and_b32_e32 v1, v1, v28
	v_xor_b32_e32 v28, vcc_hi, v5
	v_xor_b32_e32 v5, vcc_lo, v5
	v_and_b32_e32 v27, v27, v5
	v_lshlrev_b32_e32 v5, 28, v0
	v_cmp_gt_i64_e32 vcc, 0, v[4:5]
	v_not_b32_e32 v5, v5
	v_ashrrev_i32_e32 v5, 31, v5
	v_and_b32_e32 v1, v1, v28
	v_xor_b32_e32 v28, vcc_hi, v5
	v_xor_b32_e32 v5, vcc_lo, v5
	v_and_b32_e32 v27, v27, v5
	v_lshlrev_b32_e32 v5, 27, v0
	v_cmp_gt_i64_e32 vcc, 0, v[4:5]
	v_not_b32_e32 v5, v5
	v_ashrrev_i32_e32 v5, 31, v5
	v_and_b32_e32 v1, v1, v28
	v_xor_b32_e32 v28, vcc_hi, v5
	v_xor_b32_e32 v5, vcc_lo, v5
	v_and_b32_e32 v27, v27, v5
	v_lshlrev_b32_e32 v5, 26, v0
	v_cmp_gt_i64_e32 vcc, 0, v[4:5]
	v_not_b32_e32 v5, v5
	v_ashrrev_i32_e32 v5, 31, v5
	v_and_b32_e32 v1, v1, v28
	v_xor_b32_e32 v28, vcc_hi, v5
	v_xor_b32_e32 v5, vcc_lo, v5
	v_and_b32_e32 v27, v27, v5
	v_lshlrev_b32_e32 v5, 25, v0
	v_cmp_gt_i64_e32 vcc, 0, v[4:5]
	v_not_b32_e32 v5, v5
	v_ashrrev_i32_e32 v5, 31, v5
	v_and_b32_e32 v1, v1, v28
	v_xor_b32_e32 v28, vcc_hi, v5
	v_xor_b32_e32 v5, vcc_lo, v5
	v_and_b32_e32 v27, v27, v5
	v_lshlrev_b32_e32 v5, 24, v0
	v_cmp_gt_i64_e32 vcc, 0, v[4:5]
	v_not_b32_e32 v0, v5
	v_ashrrev_i32_e32 v0, 31, v0
	v_xor_b32_e32 v5, vcc_hi, v0
	v_xor_b32_e32 v0, vcc_lo, v0
	v_and_b32_e32 v1, v1, v28
	v_and_b32_e32 v0, v27, v0
	;; [unrolled: 1-line block ×3, first 2 shown]
	v_mbcnt_lo_u32_b32 v5, v0, 0
	v_mbcnt_hi_u32_b32 v27, v1, v5
	v_cmp_ne_u64_e32 vcc, 0, v[0:1]
	v_cmp_eq_u32_e64 s[36:37], 0, v27
	s_and_b64 s[40:41], vcc, s[36:37]
	v_add_u32_e32 v28, v17, v6
	; wave barrier
	s_and_saveexec_b64 s[36:37], s[40:41]
	s_cbranch_execz .LBB37_10
; %bb.9:                                ;   in Loop: Header=BB37_6 Depth=2
	v_bcnt_u32_b32 v0, v0, 0
	v_bcnt_u32_b32 v0, v1, v0
	s_waitcnt lgkmcnt(0)
	v_add_u32_e32 v0, v26, v0
	ds_write_b32 v28, v0 offset:20
.LBB37_10:                              ;   in Loop: Header=BB37_6 Depth=2
	s_or_b64 exec, exec, s[36:37]
	; wave barrier
	s_waitcnt lgkmcnt(0)
	s_barrier
	ds_read2_b32 v[5:6], v2 offset0:5 offset1:6
	ds_read2_b32 v[0:1], v2 offset0:7 offset1:8
	s_waitcnt lgkmcnt(1)
	v_add_u32_e32 v29, v6, v5
	s_waitcnt lgkmcnt(0)
	v_add3_u32 v1, v29, v0, v1
	s_nop 1
	v_mov_b32_dpp v29, v1 row_shr:1 row_mask:0xf bank_mask:0xf
	v_cndmask_b32_e64 v29, v29, 0, s[4:5]
	v_add_u32_e32 v1, v29, v1
	s_nop 1
	v_mov_b32_dpp v29, v1 row_shr:2 row_mask:0xf bank_mask:0xf
	v_cndmask_b32_e64 v29, 0, v29, s[6:7]
	v_add_u32_e32 v1, v1, v29
	;; [unrolled: 4-line block ×4, first 2 shown]
	s_nop 1
	v_mov_b32_dpp v29, v1 row_bcast:15 row_mask:0xf bank_mask:0xf
	v_cndmask_b32_e64 v29, v29, 0, s[12:13]
	v_add_u32_e32 v1, v1, v29
	s_nop 1
	v_mov_b32_dpp v29, v1 row_bcast:31 row_mask:0xf bank_mask:0xf
	v_cndmask_b32_e64 v29, 0, v29, s[14:15]
	v_add_u32_e32 v1, v1, v29
	s_and_saveexec_b64 s[36:37], s[16:17]
; %bb.11:                               ;   in Loop: Header=BB37_6 Depth=2
	ds_write_b32 v11, v1
; %bb.12:                               ;   in Loop: Header=BB37_6 Depth=2
	s_or_b64 exec, exec, s[36:37]
	s_waitcnt lgkmcnt(0)
	s_barrier
	s_and_saveexec_b64 s[36:37], s[18:19]
	s_cbranch_execz .LBB37_14
; %bb.13:                               ;   in Loop: Header=BB37_6 Depth=2
	ds_read_b32 v29, v12
	s_waitcnt lgkmcnt(0)
	s_nop 0
	v_mov_b32_dpp v30, v29 row_shr:1 row_mask:0xf bank_mask:0xf
	v_cndmask_b32_e64 v30, v30, 0, s[28:29]
	v_add_u32_e32 v29, v30, v29
	s_nop 1
	v_mov_b32_dpp v30, v29 row_shr:2 row_mask:0xf bank_mask:0xf
	v_cndmask_b32_e64 v30, 0, v30, s[30:31]
	v_add_u32_e32 v29, v29, v30
	;; [unrolled: 4-line block ×3, first 2 shown]
	ds_write_b32 v12, v29
.LBB37_14:                              ;   in Loop: Header=BB37_6 Depth=2
	s_or_b64 exec, exec, s[36:37]
	v_mov_b32_e32 v29, 0
	s_waitcnt lgkmcnt(0)
	s_barrier
	s_and_saveexec_b64 s[36:37], s[20:21]
; %bb.15:                               ;   in Loop: Header=BB37_6 Depth=2
	v_add_u32_e32 v29, -4, v11
	ds_read_b32 v29, v29
; %bb.16:                               ;   in Loop: Header=BB37_6 Depth=2
	s_or_b64 exec, exec, s[36:37]
	s_waitcnt lgkmcnt(0)
	v_add_u32_e32 v1, v29, v1
	ds_bpermute_b32 v1, v9, v1
	v_cmp_lt_u32_e32 vcc, 23, v22
	s_and_b64 vcc, exec, vcc
	s_mov_b64 s[36:37], -1
	s_waitcnt lgkmcnt(0)
	v_cndmask_b32_e64 v1, v1, v29, s[22:23]
	v_cndmask_b32_e64 v1, v1, 0, s[24:25]
	v_add_u32_e32 v5, v1, v5
	v_add_u32_e32 v6, v5, v6
	;; [unrolled: 1-line block ×3, first 2 shown]
	ds_write2_b32 v2, v1, v5 offset0:5 offset1:6
	ds_write2_b32 v2, v6, v0 offset0:7 offset1:8
	s_waitcnt lgkmcnt(0)
	s_barrier
	ds_read_b32 v0, v25 offset:20
	ds_read_b32 v1, v28 offset:20
	s_waitcnt lgkmcnt(1)
	v_add_u32_e32 v6, v0, v24
	s_waitcnt lgkmcnt(0)
	v_add3_u32 v5, v27, v26, v1
                                        ; implicit-def: $vgpr1
	s_cbranch_vccnz .LBB37_5
; %bb.17:                               ;   in Loop: Header=BB37_6 Depth=2
	v_lshlrev_b32_e32 v0, 2, v6
	s_barrier
	ds_write_b32 v0, v23
	v_lshlrev_b32_e32 v0, 2, v5
	ds_write_b32 v0, v21
	s_waitcnt lgkmcnt(0)
	s_barrier
	ds_read2st64_b32 v[0:1], v14 offset1:1
	v_add_u32_e32 v22, 8, v22
	s_mov_b64 s[36:37], 0
	s_waitcnt lgkmcnt(0)
	s_barrier
	s_branch .LBB37_5
.LBB37_18:                              ;   in Loop: Header=BB37_2 Depth=1
	v_lshlrev_b32_e32 v0, 2, v6
	s_barrier
	ds_write_b32 v0, v23
	v_lshlrev_b32_e32 v0, 2, v5
	ds_write_b32 v0, v21
	s_waitcnt lgkmcnt(0)
	s_barrier
	ds_read_b64 v[0:1], v15
	s_waitcnt lgkmcnt(0)
	s_barrier
	s_and_saveexec_b64 s[36:37], s[0:1]
; %bb.19:                               ;   in Loop: Header=BB37_2 Depth=1
	v_mov_b32_e32 v5, 0x280
	ds_write2st64_b32 v18, v5, v5 offset0:10 offset1:15
; %bb.20:                               ;   in Loop: Header=BB37_2 Depth=1
	s_or_b64 exec, exec, s[36:37]
	v_xor_b32_e32 v5, 0x80000000, v0
	v_xor_b32_e32 v6, 0x80000000, v1
	v_cmp_ne_u32_e32 vcc, v0, v1
	v_lshlrev_b32_e32 v0, 2, v5
	s_waitcnt lgkmcnt(0)
	s_barrier
	ds_write_b32 v12, v6
	s_and_saveexec_b64 s[36:37], vcc
	s_cbranch_execz .LBB37_22
; %bb.21:                               ;   in Loop: Header=BB37_2 Depth=1
	v_lshlrev_b32_e32 v1, 2, v6
	ds_write_b32 v1, v16 offset:2560
	ds_write_b32 v0, v16 offset:3840
.LBB37_22:                              ;   in Loop: Header=BB37_2 Depth=1
	s_or_b64 exec, exec, s[36:37]
	s_waitcnt lgkmcnt(0)
	s_barrier
	s_and_saveexec_b64 s[36:37], s[26:27]
	s_cbranch_execz .LBB37_25
; %bb.23:                               ;   in Loop: Header=BB37_2 Depth=1
	ds_read_b32 v1, v19
	s_waitcnt lgkmcnt(0)
	v_cmp_ne_u32_e32 vcc, v1, v5
	s_and_b64 exec, exec, vcc
	s_cbranch_execz .LBB37_25
; %bb.24:                               ;   in Loop: Header=BB37_2 Depth=1
	ds_write_b32 v0, v13 offset:2560
	ds_read_b32 v1, v19
	s_waitcnt lgkmcnt(0)
	v_lshlrev_b32_e32 v1, 2, v1
	ds_write_b32 v1, v13 offset:3840
.LBB37_25:                              ;   in Loop: Header=BB37_2 Depth=1
	s_or_b64 exec, exec, s[36:37]
	s_waitcnt lgkmcnt(0)
	s_barrier
	s_and_saveexec_b64 s[36:37], s[24:25]
; %bb.26:                               ;   in Loop: Header=BB37_2 Depth=1
	ds_write_b32 v0, v4 offset:2560
; %bb.27:                               ;   in Loop: Header=BB37_2 Depth=1
	s_or_b64 exec, exec, s[36:37]
	s_waitcnt lgkmcnt(0)
	s_barrier
	s_and_saveexec_b64 s[36:37], s[0:1]
	s_cbranch_execz .LBB37_1
; %bb.28:                               ;   in Loop: Header=BB37_2 Depth=1
	ds_read2st64_b32 v[0:1], v18 offset0:10 offset1:15
	ds_read_b32 v21, v10
	s_waitcnt lgkmcnt(1)
	v_sub_u32_e32 v0, v1, v0
	s_waitcnt lgkmcnt(0)
	v_add_u32_e32 v0, v0, v21
	ds_write_b32 v10, v0
	s_branch .LBB37_1
.LBB37_29:
	s_and_saveexec_b64 s[2:3], s[0:1]
	s_cbranch_execz .LBB37_31
; %bb.30:
	v_mov_b32_e32 v4, 0
	v_lshlrev_b64 v[0:1], 2, v[3:4]
	ds_read_b32 v3, v10
	v_mov_b32_e32 v2, s39
	v_add_co_u32_e32 v0, vcc, s38, v0
	v_addc_co_u32_e32 v1, vcc, v2, v1, vcc
	s_waitcnt lgkmcnt(0)
	global_store_dword v[0:1], v3, off
.LBB37_31:
	s_endpgm
	.section	.rodata,"a",@progbits
	.p2align	6, 0x0
	.amdhsa_kernel _Z6kernelI9histogramILN6hipcub23BlockHistogramAlgorithmE1EEiLj320ELj2ELj320ELj100EEvPKT0_PS4_
		.amdhsa_group_segment_fixed_size 6432
		.amdhsa_private_segment_fixed_size 0
		.amdhsa_kernarg_size 272
		.amdhsa_user_sgpr_count 6
		.amdhsa_user_sgpr_private_segment_buffer 1
		.amdhsa_user_sgpr_dispatch_ptr 0
		.amdhsa_user_sgpr_queue_ptr 0
		.amdhsa_user_sgpr_kernarg_segment_ptr 1
		.amdhsa_user_sgpr_dispatch_id 0
		.amdhsa_user_sgpr_flat_scratch_init 0
		.amdhsa_user_sgpr_private_segment_size 0
		.amdhsa_uses_dynamic_stack 0
		.amdhsa_system_sgpr_private_segment_wavefront_offset 0
		.amdhsa_system_sgpr_workgroup_id_x 1
		.amdhsa_system_sgpr_workgroup_id_y 0
		.amdhsa_system_sgpr_workgroup_id_z 0
		.amdhsa_system_sgpr_workgroup_info 0
		.amdhsa_system_vgpr_workitem_id 2
		.amdhsa_next_free_vgpr 31
		.amdhsa_next_free_sgpr 42
		.amdhsa_reserve_vcc 1
		.amdhsa_reserve_flat_scratch 0
		.amdhsa_float_round_mode_32 0
		.amdhsa_float_round_mode_16_64 0
		.amdhsa_float_denorm_mode_32 3
		.amdhsa_float_denorm_mode_16_64 3
		.amdhsa_dx10_clamp 1
		.amdhsa_ieee_mode 1
		.amdhsa_fp16_overflow 0
		.amdhsa_exception_fp_ieee_invalid_op 0
		.amdhsa_exception_fp_denorm_src 0
		.amdhsa_exception_fp_ieee_div_zero 0
		.amdhsa_exception_fp_ieee_overflow 0
		.amdhsa_exception_fp_ieee_underflow 0
		.amdhsa_exception_fp_ieee_inexact 0
		.amdhsa_exception_int_div_zero 0
	.end_amdhsa_kernel
	.section	.text._Z6kernelI9histogramILN6hipcub23BlockHistogramAlgorithmE1EEiLj320ELj2ELj320ELj100EEvPKT0_PS4_,"axG",@progbits,_Z6kernelI9histogramILN6hipcub23BlockHistogramAlgorithmE1EEiLj320ELj2ELj320ELj100EEvPKT0_PS4_,comdat
.Lfunc_end37:
	.size	_Z6kernelI9histogramILN6hipcub23BlockHistogramAlgorithmE1EEiLj320ELj2ELj320ELj100EEvPKT0_PS4_, .Lfunc_end37-_Z6kernelI9histogramILN6hipcub23BlockHistogramAlgorithmE1EEiLj320ELj2ELj320ELj100EEvPKT0_PS4_
                                        ; -- End function
	.set _Z6kernelI9histogramILN6hipcub23BlockHistogramAlgorithmE1EEiLj320ELj2ELj320ELj100EEvPKT0_PS4_.num_vgpr, 31
	.set _Z6kernelI9histogramILN6hipcub23BlockHistogramAlgorithmE1EEiLj320ELj2ELj320ELj100EEvPKT0_PS4_.num_agpr, 0
	.set _Z6kernelI9histogramILN6hipcub23BlockHistogramAlgorithmE1EEiLj320ELj2ELj320ELj100EEvPKT0_PS4_.numbered_sgpr, 42
	.set _Z6kernelI9histogramILN6hipcub23BlockHistogramAlgorithmE1EEiLj320ELj2ELj320ELj100EEvPKT0_PS4_.num_named_barrier, 0
	.set _Z6kernelI9histogramILN6hipcub23BlockHistogramAlgorithmE1EEiLj320ELj2ELj320ELj100EEvPKT0_PS4_.private_seg_size, 0
	.set _Z6kernelI9histogramILN6hipcub23BlockHistogramAlgorithmE1EEiLj320ELj2ELj320ELj100EEvPKT0_PS4_.uses_vcc, 1
	.set _Z6kernelI9histogramILN6hipcub23BlockHistogramAlgorithmE1EEiLj320ELj2ELj320ELj100EEvPKT0_PS4_.uses_flat_scratch, 0
	.set _Z6kernelI9histogramILN6hipcub23BlockHistogramAlgorithmE1EEiLj320ELj2ELj320ELj100EEvPKT0_PS4_.has_dyn_sized_stack, 0
	.set _Z6kernelI9histogramILN6hipcub23BlockHistogramAlgorithmE1EEiLj320ELj2ELj320ELj100EEvPKT0_PS4_.has_recursion, 0
	.set _Z6kernelI9histogramILN6hipcub23BlockHistogramAlgorithmE1EEiLj320ELj2ELj320ELj100EEvPKT0_PS4_.has_indirect_call, 0
	.section	.AMDGPU.csdata,"",@progbits
; Kernel info:
; codeLenInByte = 2196
; TotalNumSgprs: 46
; NumVgprs: 31
; ScratchSize: 0
; MemoryBound: 0
; FloatMode: 240
; IeeeMode: 1
; LDSByteSize: 6432 bytes/workgroup (compile time only)
; SGPRBlocks: 5
; VGPRBlocks: 7
; NumSGPRsForWavesPerEU: 46
; NumVGPRsForWavesPerEU: 31
; Occupancy: 8
; WaveLimiterHint : 0
; COMPUTE_PGM_RSRC2:SCRATCH_EN: 0
; COMPUTE_PGM_RSRC2:USER_SGPR: 6
; COMPUTE_PGM_RSRC2:TRAP_HANDLER: 0
; COMPUTE_PGM_RSRC2:TGID_X_EN: 1
; COMPUTE_PGM_RSRC2:TGID_Y_EN: 0
; COMPUTE_PGM_RSRC2:TGID_Z_EN: 0
; COMPUTE_PGM_RSRC2:TIDIG_COMP_CNT: 2
	.section	.text._Z6kernelI9histogramILN6hipcub23BlockHistogramAlgorithmE1EEiLj320ELj3ELj320ELj100EEvPKT0_PS4_,"axG",@progbits,_Z6kernelI9histogramILN6hipcub23BlockHistogramAlgorithmE1EEiLj320ELj3ELj320ELj100EEvPKT0_PS4_,comdat
	.protected	_Z6kernelI9histogramILN6hipcub23BlockHistogramAlgorithmE1EEiLj320ELj3ELj320ELj100EEvPKT0_PS4_ ; -- Begin function _Z6kernelI9histogramILN6hipcub23BlockHistogramAlgorithmE1EEiLj320ELj3ELj320ELj100EEvPKT0_PS4_
	.globl	_Z6kernelI9histogramILN6hipcub23BlockHistogramAlgorithmE1EEiLj320ELj3ELj320ELj100EEvPKT0_PS4_
	.p2align	8
	.type	_Z6kernelI9histogramILN6hipcub23BlockHistogramAlgorithmE1EEiLj320ELj3ELj320ELj100EEvPKT0_PS4_,@function
_Z6kernelI9histogramILN6hipcub23BlockHistogramAlgorithmE1EEiLj320ELj3ELj320ELj100EEvPKT0_PS4_: ; @_Z6kernelI9histogramILN6hipcub23BlockHistogramAlgorithmE1EEiLj320ELj3ELj320ELj100EEvPKT0_PS4_
; %bb.0:
	s_mulk_i32 s6, 0x140
	s_load_dwordx4 s[36:39], s[4:5], 0x0
	s_load_dword s2, s[4:5], 0x1c
	v_add_u32_e32 v3, s6, v0
	v_mov_b32_e32 v4, 0
	v_lshl_add_u32 v5, v3, 1, v3
	v_mov_b32_e32 v6, v4
	v_lshlrev_b64 v[6:7], 2, v[5:6]
	s_waitcnt lgkmcnt(0)
	v_mov_b32_e32 v9, s37
	v_add_co_u32_e32 v8, vcc, s36, v6
	v_addc_co_u32_e32 v9, vcc, v9, v7, vcc
	v_add_u32_e32 v6, 1, v5
	v_mov_b32_e32 v7, v4
	v_lshlrev_b64 v[6:7], 2, v[6:7]
	v_add_u32_e32 v5, 2, v5
	v_add_co_u32_e32 v10, vcc, s36, v6
	v_mov_b32_e32 v6, v4
	v_mov_b32_e32 v11, s37
	v_lshlrev_b64 v[5:6], 2, v[5:6]
	v_addc_co_u32_e32 v11, vcc, v11, v7, vcc
	v_mov_b32_e32 v7, s37
	v_add_co_u32_e32 v12, vcc, s36, v5
	v_addc_co_u32_e32 v13, vcc, v7, v6, vcc
	global_load_dword v21, v[8:9], off
	global_load_dword v5, v[10:11], off
	;; [unrolled: 1-line block ×3, first 2 shown]
	v_mbcnt_lo_u32_b32 v7, -1, 0
	s_lshr_b32 s3, s2, 16
	v_mbcnt_hi_u32_b32 v13, -1, v7
	s_and_b32 s2, s2, 0xffff
	v_mad_u32_u24 v1, v2, s3, v1
	v_mad_u64_u32 v[1:2], s[2:3], v1, s2, v[0:1]
	v_and_b32_e32 v7, 15, v13
	v_cmp_eq_u32_e64 s[2:3], 0, v7
	v_cmp_lt_u32_e64 s[4:5], 1, v7
	v_cmp_lt_u32_e64 s[6:7], 3, v7
	;; [unrolled: 1-line block ×3, first 2 shown]
	v_and_b32_e32 v7, 16, v13
	v_and_b32_e32 v14, 0x1c0, v0
	v_cmp_eq_u32_e64 s[10:11], 0, v7
	v_min_u32_e32 v7, 0x100, v14
	v_or_b32_e32 v7, 63, v7
	v_cmp_eq_u32_e64 s[12:13], v0, v7
	v_and_b32_e32 v7, 7, v13
	s_movk_i32 s0, 0x140
	v_lshrrev_b32_e32 v16, 6, v0
	v_lshlrev_b32_e32 v2, 4, v0
	v_cmp_eq_u32_e64 s[24:25], 0, v7
	v_cmp_lt_u32_e64 s[26:27], 1, v7
	v_cmp_lt_u32_e64 s[28:29], 3, v7
	v_mov_b32_e32 v7, 0x1420
	v_cmp_gt_u32_e64 s[0:1], s0, v0
	v_cmp_gt_u32_e64 s[14:15], 5, v0
	v_cmp_lt_u32_e64 s[16:17], 63, v0
	v_subrev_co_u32_e64 v12, s[18:19], 1, v13
	v_and_b32_e32 v15, 64, v13
	v_cmp_eq_u32_e64 s[20:21], 0, v0
	v_cmp_ne_u32_e64 s[22:23], 0, v0
	v_mad_i32_i24 v8, v0, -12, v2
	v_mul_u32_u24_e32 v9, 3, v0
	v_lshlrev_b32_e32 v18, 3, v0
	v_lshl_add_u32 v7, v0, 2, v7
	v_mad_u32_u24 v10, v0, 3, 2
	v_mad_u32_u24 v11, v0, 3, 1
	v_lshrrev_b32_e32 v0, 4, v1
	v_mul_u32_u24_e32 v1, 0xc0, v16
	v_lshlrev_b32_e32 v1, 2, v1
	v_cmp_lt_i32_e32 vcc, v12, v15
	v_lshlrev_b32_e32 v17, 2, v13
	v_cmp_lt_u32_e64 s[30:31], 31, v13
	v_cndmask_b32_e32 v15, v12, v13, vcc
	v_mad_u32_u24 v12, v13, 12, v1
	v_add_u32_e32 v13, v17, v1
	v_mul_u32_u24_e32 v1, 12, v14
	v_add_u32_e32 v14, v17, v1
	v_add_u32_e32 v17, v8, v18
	v_sub_u32_e32 v1, 0, v18
	s_mov_b32 s33, 0
	v_lshlrev_b32_e32 v15, 2, v15
	v_lshlrev_b32_e32 v16, 2, v16
	v_and_b32_e32 v18, 0xffffffc, v0
	v_add_u32_e32 v19, v17, v1
	v_add_u32_e32 v20, -4, v8
	s_branch .LBB38_2
.LBB38_1:                               ;   in Loop: Header=BB38_2 Depth=1
	s_or_b64 exec, exec, s[34:35]
	s_add_i32 s33, s33, 1
	s_cmpk_lg_i32 s33, 0x64
	s_cbranch_scc0 .LBB38_33
.LBB38_2:                               ; =>This Loop Header: Depth=1
                                        ;     Child Loop BB38_6 Depth 2
	s_and_saveexec_b64 s[34:35], s[0:1]
; %bb.3:                                ;   in Loop: Header=BB38_2 Depth=1
	ds_write_b32 v7, v4
; %bb.4:                                ;   in Loop: Header=BB38_2 Depth=1
	s_or_b64 exec, exec, s[34:35]
	s_waitcnt vmcnt(2)
	v_xor_b32_e32 v0, 0x80000000, v21
	s_waitcnt vmcnt(1)
	v_xor_b32_e32 v1, 0x80000000, v5
	s_waitcnt vmcnt(0) lgkmcnt(0)
	s_barrier
	v_xor_b32_e32 v5, 0x80000000, v6
	ds_write2_b32 v12, v0, v1 offset1:1
	ds_write_b32 v12, v5 offset:8
	; wave barrier
	ds_read2st64_b32 v[0:1], v13 offset1:1
	ds_read_b32 v26, v13 offset:512
	v_mov_b32_e32 v23, 0
	s_waitcnt lgkmcnt(0)
	s_barrier
	; wave barrier
	s_barrier
	s_branch .LBB38_6
.LBB38_5:                               ;   in Loop: Header=BB38_6 Depth=2
	s_andn2_b64 vcc, exec, s[34:35]
	s_cbranch_vccz .LBB38_20
.LBB38_6:                               ;   Parent Loop BB38_2 Depth=1
                                        ; =>  This Inner Loop Header: Depth=2
	v_mov_b32_e32 v24, v0
	v_mov_b32_e32 v22, v1
	v_lshrrev_b32_e32 v0, v23, v24
	v_mov_b32_e32 v1, 20
	v_mul_u32_u24_sdwa v6, v0, v1 dst_sel:DWORD dst_unused:UNUSED_PAD src0_sel:BYTE_0 src1_sel:DWORD
	v_and_b32_e32 v1, 1, v0
	v_add_co_u32_e32 v5, vcc, -1, v1
	v_addc_co_u32_e64 v25, s[34:35], 0, -1, vcc
	v_cmp_ne_u32_e32 vcc, 0, v1
	v_xor_b32_e32 v5, vcc_lo, v5
	v_xor_b32_e32 v1, vcc_hi, v25
	v_and_b32_e32 v25, exec_lo, v5
	v_lshlrev_b32_e32 v5, 30, v0
	v_cmp_gt_i64_e32 vcc, 0, v[4:5]
	v_not_b32_e32 v5, v5
	v_ashrrev_i32_e32 v5, 31, v5
	v_mov_b32_e32 v21, v26
	v_xor_b32_e32 v26, vcc_hi, v5
	v_xor_b32_e32 v5, vcc_lo, v5
	v_and_b32_e32 v25, v25, v5
	v_lshlrev_b32_e32 v5, 29, v0
	v_cmp_gt_i64_e32 vcc, 0, v[4:5]
	v_not_b32_e32 v5, v5
	v_and_b32_e32 v1, exec_hi, v1
	v_ashrrev_i32_e32 v5, 31, v5
	v_and_b32_e32 v1, v1, v26
	v_xor_b32_e32 v26, vcc_hi, v5
	v_xor_b32_e32 v5, vcc_lo, v5
	v_and_b32_e32 v25, v25, v5
	v_lshlrev_b32_e32 v5, 28, v0
	v_cmp_gt_i64_e32 vcc, 0, v[4:5]
	v_not_b32_e32 v5, v5
	v_ashrrev_i32_e32 v5, 31, v5
	v_and_b32_e32 v1, v1, v26
	v_xor_b32_e32 v26, vcc_hi, v5
	v_xor_b32_e32 v5, vcc_lo, v5
	v_and_b32_e32 v25, v25, v5
	v_lshlrev_b32_e32 v5, 27, v0
	v_cmp_gt_i64_e32 vcc, 0, v[4:5]
	v_not_b32_e32 v5, v5
	;; [unrolled: 8-line block ×5, first 2 shown]
	v_ashrrev_i32_e32 v0, 31, v0
	v_xor_b32_e32 v5, vcc_hi, v0
	v_xor_b32_e32 v0, vcc_lo, v0
	v_and_b32_e32 v1, v1, v26
	v_and_b32_e32 v0, v25, v0
	;; [unrolled: 1-line block ×3, first 2 shown]
	v_mbcnt_lo_u32_b32 v5, v0, 0
	v_mbcnt_hi_u32_b32 v25, v1, v5
	v_cmp_ne_u64_e32 vcc, 0, v[0:1]
	v_cmp_eq_u32_e64 s[34:35], 0, v25
	s_and_b64 s[36:37], vcc, s[34:35]
	v_add_u32_e32 v26, v18, v6
	ds_write2_b32 v2, v4, v4 offset0:5 offset1:6
	ds_write2_b32 v2, v4, v4 offset0:7 offset1:8
	s_waitcnt lgkmcnt(0)
	s_barrier
	; wave barrier
	s_and_saveexec_b64 s[34:35], s[36:37]
; %bb.7:                                ;   in Loop: Header=BB38_6 Depth=2
	v_bcnt_u32_b32 v0, v0, 0
	v_bcnt_u32_b32 v0, v1, v0
	ds_write_b32 v26, v0 offset:20
; %bb.8:                                ;   in Loop: Header=BB38_6 Depth=2
	s_or_b64 exec, exec, s[34:35]
	v_lshrrev_b32_e32 v0, v23, v22
	v_and_b32_e32 v1, 0xff, v0
	v_mul_u32_u24_e32 v6, 20, v1
	v_mad_u32_u24 v1, v1, 20, v18
	; wave barrier
	ds_read_b32 v27, v1 offset:20
	v_and_b32_e32 v1, 1, v0
	v_add_co_u32_e32 v5, vcc, -1, v1
	v_addc_co_u32_e64 v28, s[34:35], 0, -1, vcc
	v_cmp_ne_u32_e32 vcc, 0, v1
	v_xor_b32_e32 v5, vcc_lo, v5
	v_xor_b32_e32 v1, vcc_hi, v28
	v_and_b32_e32 v28, exec_lo, v5
	v_lshlrev_b32_e32 v5, 30, v0
	v_cmp_gt_i64_e32 vcc, 0, v[4:5]
	v_not_b32_e32 v5, v5
	v_ashrrev_i32_e32 v5, 31, v5
	v_xor_b32_e32 v29, vcc_hi, v5
	v_xor_b32_e32 v5, vcc_lo, v5
	v_and_b32_e32 v28, v28, v5
	v_lshlrev_b32_e32 v5, 29, v0
	v_cmp_gt_i64_e32 vcc, 0, v[4:5]
	v_not_b32_e32 v5, v5
	v_and_b32_e32 v1, exec_hi, v1
	v_ashrrev_i32_e32 v5, 31, v5
	v_and_b32_e32 v1, v1, v29
	v_xor_b32_e32 v29, vcc_hi, v5
	v_xor_b32_e32 v5, vcc_lo, v5
	v_and_b32_e32 v28, v28, v5
	v_lshlrev_b32_e32 v5, 28, v0
	v_cmp_gt_i64_e32 vcc, 0, v[4:5]
	v_not_b32_e32 v5, v5
	v_ashrrev_i32_e32 v5, 31, v5
	v_and_b32_e32 v1, v1, v29
	v_xor_b32_e32 v29, vcc_hi, v5
	v_xor_b32_e32 v5, vcc_lo, v5
	v_and_b32_e32 v28, v28, v5
	v_lshlrev_b32_e32 v5, 27, v0
	v_cmp_gt_i64_e32 vcc, 0, v[4:5]
	v_not_b32_e32 v5, v5
	;; [unrolled: 8-line block ×5, first 2 shown]
	v_ashrrev_i32_e32 v0, 31, v0
	v_xor_b32_e32 v5, vcc_hi, v0
	v_xor_b32_e32 v0, vcc_lo, v0
	v_and_b32_e32 v1, v1, v29
	v_and_b32_e32 v0, v28, v0
	;; [unrolled: 1-line block ×3, first 2 shown]
	v_mbcnt_lo_u32_b32 v5, v0, 0
	v_mbcnt_hi_u32_b32 v28, v1, v5
	v_cmp_ne_u64_e32 vcc, 0, v[0:1]
	v_cmp_eq_u32_e64 s[34:35], 0, v28
	s_and_b64 s[36:37], vcc, s[34:35]
	v_add_u32_e32 v29, v18, v6
	; wave barrier
	s_and_saveexec_b64 s[34:35], s[36:37]
	s_cbranch_execz .LBB38_10
; %bb.9:                                ;   in Loop: Header=BB38_6 Depth=2
	v_bcnt_u32_b32 v0, v0, 0
	v_bcnt_u32_b32 v0, v1, v0
	s_waitcnt lgkmcnt(0)
	v_add_u32_e32 v0, v27, v0
	ds_write_b32 v29, v0 offset:20
.LBB38_10:                              ;   in Loop: Header=BB38_6 Depth=2
	s_or_b64 exec, exec, s[34:35]
	v_lshrrev_b32_e32 v0, v23, v21
	v_and_b32_e32 v1, 0xff, v0
	v_mul_u32_u24_e32 v6, 20, v1
	v_mad_u32_u24 v1, v1, 20, v18
	; wave barrier
	ds_read_b32 v30, v1 offset:20
	v_and_b32_e32 v1, 1, v0
	v_add_co_u32_e32 v5, vcc, -1, v1
	v_addc_co_u32_e64 v31, s[34:35], 0, -1, vcc
	v_cmp_ne_u32_e32 vcc, 0, v1
	v_xor_b32_e32 v5, vcc_lo, v5
	v_xor_b32_e32 v1, vcc_hi, v31
	v_and_b32_e32 v31, exec_lo, v5
	v_lshlrev_b32_e32 v5, 30, v0
	v_cmp_gt_i64_e32 vcc, 0, v[4:5]
	v_not_b32_e32 v5, v5
	v_ashrrev_i32_e32 v5, 31, v5
	v_xor_b32_e32 v32, vcc_hi, v5
	v_xor_b32_e32 v5, vcc_lo, v5
	v_and_b32_e32 v31, v31, v5
	v_lshlrev_b32_e32 v5, 29, v0
	v_cmp_gt_i64_e32 vcc, 0, v[4:5]
	v_not_b32_e32 v5, v5
	v_and_b32_e32 v1, exec_hi, v1
	v_ashrrev_i32_e32 v5, 31, v5
	v_and_b32_e32 v1, v1, v32
	v_xor_b32_e32 v32, vcc_hi, v5
	v_xor_b32_e32 v5, vcc_lo, v5
	v_and_b32_e32 v31, v31, v5
	v_lshlrev_b32_e32 v5, 28, v0
	v_cmp_gt_i64_e32 vcc, 0, v[4:5]
	v_not_b32_e32 v5, v5
	v_ashrrev_i32_e32 v5, 31, v5
	v_and_b32_e32 v1, v1, v32
	v_xor_b32_e32 v32, vcc_hi, v5
	v_xor_b32_e32 v5, vcc_lo, v5
	v_and_b32_e32 v31, v31, v5
	v_lshlrev_b32_e32 v5, 27, v0
	v_cmp_gt_i64_e32 vcc, 0, v[4:5]
	v_not_b32_e32 v5, v5
	;; [unrolled: 8-line block ×5, first 2 shown]
	v_ashrrev_i32_e32 v0, 31, v0
	v_xor_b32_e32 v5, vcc_hi, v0
	v_xor_b32_e32 v0, vcc_lo, v0
	v_and_b32_e32 v1, v1, v32
	v_and_b32_e32 v0, v31, v0
	;; [unrolled: 1-line block ×3, first 2 shown]
	v_mbcnt_lo_u32_b32 v5, v0, 0
	v_mbcnt_hi_u32_b32 v31, v1, v5
	v_cmp_ne_u64_e32 vcc, 0, v[0:1]
	v_cmp_eq_u32_e64 s[34:35], 0, v31
	s_and_b64 s[36:37], vcc, s[34:35]
	v_add_u32_e32 v32, v18, v6
	; wave barrier
	s_and_saveexec_b64 s[34:35], s[36:37]
	s_cbranch_execz .LBB38_12
; %bb.11:                               ;   in Loop: Header=BB38_6 Depth=2
	v_bcnt_u32_b32 v0, v0, 0
	v_bcnt_u32_b32 v0, v1, v0
	s_waitcnt lgkmcnt(0)
	v_add_u32_e32 v0, v30, v0
	ds_write_b32 v32, v0 offset:20
.LBB38_12:                              ;   in Loop: Header=BB38_6 Depth=2
	s_or_b64 exec, exec, s[34:35]
	; wave barrier
	s_waitcnt lgkmcnt(0)
	s_barrier
	ds_read2_b32 v[5:6], v2 offset0:5 offset1:6
	ds_read2_b32 v[0:1], v2 offset0:7 offset1:8
	s_waitcnt lgkmcnt(1)
	v_add_u32_e32 v33, v6, v5
	s_waitcnt lgkmcnt(0)
	v_add3_u32 v1, v33, v0, v1
	s_nop 1
	v_mov_b32_dpp v33, v1 row_shr:1 row_mask:0xf bank_mask:0xf
	v_cndmask_b32_e64 v33, v33, 0, s[2:3]
	v_add_u32_e32 v1, v33, v1
	s_nop 1
	v_mov_b32_dpp v33, v1 row_shr:2 row_mask:0xf bank_mask:0xf
	v_cndmask_b32_e64 v33, 0, v33, s[4:5]
	v_add_u32_e32 v1, v1, v33
	;; [unrolled: 4-line block ×4, first 2 shown]
	s_nop 1
	v_mov_b32_dpp v33, v1 row_bcast:15 row_mask:0xf bank_mask:0xf
	v_cndmask_b32_e64 v33, v33, 0, s[10:11]
	v_add_u32_e32 v1, v1, v33
	s_nop 1
	v_mov_b32_dpp v33, v1 row_bcast:31 row_mask:0xf bank_mask:0xf
	v_cndmask_b32_e64 v33, 0, v33, s[30:31]
	v_add_u32_e32 v1, v1, v33
	s_and_saveexec_b64 s[34:35], s[12:13]
; %bb.13:                               ;   in Loop: Header=BB38_6 Depth=2
	ds_write_b32 v16, v1
; %bb.14:                               ;   in Loop: Header=BB38_6 Depth=2
	s_or_b64 exec, exec, s[34:35]
	s_waitcnt lgkmcnt(0)
	s_barrier
	s_and_saveexec_b64 s[34:35], s[14:15]
	s_cbranch_execz .LBB38_16
; %bb.15:                               ;   in Loop: Header=BB38_6 Depth=2
	ds_read_b32 v33, v8
	s_waitcnt lgkmcnt(0)
	s_nop 0
	v_mov_b32_dpp v34, v33 row_shr:1 row_mask:0xf bank_mask:0xf
	v_cndmask_b32_e64 v34, v34, 0, s[24:25]
	v_add_u32_e32 v33, v34, v33
	s_nop 1
	v_mov_b32_dpp v34, v33 row_shr:2 row_mask:0xf bank_mask:0xf
	v_cndmask_b32_e64 v34, 0, v34, s[26:27]
	v_add_u32_e32 v33, v33, v34
	;; [unrolled: 4-line block ×3, first 2 shown]
	ds_write_b32 v8, v33
.LBB38_16:                              ;   in Loop: Header=BB38_6 Depth=2
	s_or_b64 exec, exec, s[34:35]
	v_mov_b32_e32 v33, 0
	s_waitcnt lgkmcnt(0)
	s_barrier
	s_and_saveexec_b64 s[34:35], s[16:17]
; %bb.17:                               ;   in Loop: Header=BB38_6 Depth=2
	v_add_u32_e32 v33, -4, v16
	ds_read_b32 v33, v33
; %bb.18:                               ;   in Loop: Header=BB38_6 Depth=2
	s_or_b64 exec, exec, s[34:35]
	s_waitcnt lgkmcnt(0)
	v_add_u32_e32 v1, v33, v1
	ds_bpermute_b32 v1, v15, v1
	v_cmp_lt_u32_e32 vcc, 23, v23
	s_and_b64 vcc, exec, vcc
	s_mov_b64 s[34:35], -1
	s_waitcnt lgkmcnt(0)
	v_cndmask_b32_e64 v1, v1, v33, s[18:19]
	v_cndmask_b32_e64 v1, v1, 0, s[20:21]
	v_add_u32_e32 v5, v1, v5
	v_add_u32_e32 v6, v5, v6
	;; [unrolled: 1-line block ×3, first 2 shown]
	ds_write2_b32 v2, v1, v5 offset0:5 offset1:6
	ds_write2_b32 v2, v6, v0 offset0:7 offset1:8
	s_waitcnt lgkmcnt(0)
	s_barrier
	ds_read_b32 v0, v26 offset:20
	ds_read_b32 v1, v29 offset:20
	;; [unrolled: 1-line block ×3, first 2 shown]
                                        ; implicit-def: $vgpr26
	s_waitcnt lgkmcnt(2)
	v_add_u32_e32 v25, v0, v25
	s_waitcnt lgkmcnt(1)
	v_add3_u32 v6, v28, v27, v1
	s_waitcnt lgkmcnt(0)
	v_add3_u32 v5, v31, v30, v5
                                        ; implicit-def: $vgpr1
	s_cbranch_vccnz .LBB38_5
; %bb.19:                               ;   in Loop: Header=BB38_6 Depth=2
	v_lshlrev_b32_e32 v0, 2, v25
	s_barrier
	ds_write_b32 v0, v24
	v_lshlrev_b32_e32 v0, 2, v6
	ds_write_b32 v0, v22
	v_lshlrev_b32_e32 v0, 2, v5
	ds_write_b32 v0, v21
	s_waitcnt lgkmcnt(0)
	s_barrier
	ds_read2st64_b32 v[0:1], v14 offset1:1
	ds_read_b32 v26, v14 offset:512
	v_add_u32_e32 v23, 8, v23
	s_mov_b64 s[34:35], 0
	s_waitcnt lgkmcnt(0)
	s_barrier
	s_branch .LBB38_5
.LBB38_20:                              ;   in Loop: Header=BB38_2 Depth=1
	v_lshlrev_b32_e32 v0, 2, v25
	s_barrier
	ds_write_b32 v0, v24
	v_lshlrev_b32_e32 v0, 2, v6
	ds_write_b32 v0, v22
	v_lshlrev_b32_e32 v0, 2, v5
	ds_write_b32 v0, v21
	s_waitcnt lgkmcnt(0)
	s_barrier
	ds_read2_b32 v[0:1], v17 offset1:1
	ds_read_b32 v21, v17 offset:8
	s_waitcnt lgkmcnt(0)
	s_barrier
	s_and_saveexec_b64 s[34:35], s[0:1]
; %bb.21:                               ;   in Loop: Header=BB38_2 Depth=1
	v_mov_b32_e32 v5, 0x3c0
	ds_write2st64_b32 v19, v5, v5 offset0:10 offset1:15
; %bb.22:                               ;   in Loop: Header=BB38_2 Depth=1
	s_or_b64 exec, exec, s[34:35]
	v_xor_b32_e32 v6, 0x80000000, v21
	v_xor_b32_e32 v5, 0x80000000, v1
	v_cmp_ne_u32_e32 vcc, v1, v21
	v_mov_b32_e32 v1, v6
	s_waitcnt lgkmcnt(0)
	s_barrier
	ds_write_b32 v8, v6
	s_and_saveexec_b64 s[34:35], vcc
	s_cbranch_execz .LBB38_24
; %bb.23:                               ;   in Loop: Header=BB38_2 Depth=1
	v_lshlrev_b32_e32 v1, 2, v6
	v_lshlrev_b32_e32 v21, 2, v5
	ds_write_b32 v1, v10 offset:2560
	ds_write_b32 v21, v10 offset:3840
	v_mov_b32_e32 v1, v5
.LBB38_24:                              ;   in Loop: Header=BB38_2 Depth=1
	s_or_b64 exec, exec, s[34:35]
	v_xor_b32_e32 v21, 0x80000000, v0
	v_cmp_ne_u32_e32 vcc, v21, v1
	v_lshlrev_b32_e32 v0, 2, v21
	s_and_saveexec_b64 s[34:35], vcc
	s_cbranch_execz .LBB38_26
; %bb.25:                               ;   in Loop: Header=BB38_2 Depth=1
	v_lshlrev_b32_e32 v1, 2, v1
	ds_write_b32 v1, v11 offset:2560
	ds_write_b32 v0, v11 offset:3840
.LBB38_26:                              ;   in Loop: Header=BB38_2 Depth=1
	s_or_b64 exec, exec, s[34:35]
	s_waitcnt lgkmcnt(0)
	s_barrier
	s_and_saveexec_b64 s[34:35], s[22:23]
	s_cbranch_execz .LBB38_29
; %bb.27:                               ;   in Loop: Header=BB38_2 Depth=1
	ds_read_b32 v1, v20
	s_waitcnt lgkmcnt(0)
	v_cmp_ne_u32_e32 vcc, v1, v21
	s_and_b64 exec, exec, vcc
	s_cbranch_execz .LBB38_29
; %bb.28:                               ;   in Loop: Header=BB38_2 Depth=1
	ds_write_b32 v0, v9 offset:2560
	ds_read_b32 v1, v20
	s_waitcnt lgkmcnt(0)
	v_lshlrev_b32_e32 v1, 2, v1
	ds_write_b32 v1, v9 offset:3840
.LBB38_29:                              ;   in Loop: Header=BB38_2 Depth=1
	s_or_b64 exec, exec, s[34:35]
	s_waitcnt lgkmcnt(0)
	s_barrier
	s_and_saveexec_b64 s[34:35], s[20:21]
; %bb.30:                               ;   in Loop: Header=BB38_2 Depth=1
	ds_write_b32 v0, v4 offset:2560
; %bb.31:                               ;   in Loop: Header=BB38_2 Depth=1
	s_or_b64 exec, exec, s[34:35]
	s_waitcnt lgkmcnt(0)
	s_barrier
	s_and_saveexec_b64 s[34:35], s[0:1]
	s_cbranch_execz .LBB38_1
; %bb.32:                               ;   in Loop: Header=BB38_2 Depth=1
	ds_read2st64_b32 v[0:1], v19 offset0:10 offset1:15
	ds_read_b32 v22, v7
	s_waitcnt lgkmcnt(1)
	v_sub_u32_e32 v0, v1, v0
	s_waitcnt lgkmcnt(0)
	v_add_u32_e32 v0, v0, v22
	ds_write_b32 v7, v0
	s_branch .LBB38_1
.LBB38_33:
	s_and_saveexec_b64 s[2:3], s[0:1]
	s_cbranch_execz .LBB38_35
; %bb.34:
	v_mov_b32_e32 v4, 0
	v_lshlrev_b64 v[0:1], 2, v[3:4]
	ds_read_b32 v3, v7
	v_mov_b32_e32 v2, s39
	v_add_co_u32_e32 v0, vcc, s38, v0
	v_addc_co_u32_e32 v1, vcc, v2, v1, vcc
	s_waitcnt lgkmcnt(0)
	global_store_dword v[0:1], v3, off
.LBB38_35:
	s_endpgm
	.section	.rodata,"a",@progbits
	.p2align	6, 0x0
	.amdhsa_kernel _Z6kernelI9histogramILN6hipcub23BlockHistogramAlgorithmE1EEiLj320ELj3ELj320ELj100EEvPKT0_PS4_
		.amdhsa_group_segment_fixed_size 6432
		.amdhsa_private_segment_fixed_size 0
		.amdhsa_kernarg_size 272
		.amdhsa_user_sgpr_count 6
		.amdhsa_user_sgpr_private_segment_buffer 1
		.amdhsa_user_sgpr_dispatch_ptr 0
		.amdhsa_user_sgpr_queue_ptr 0
		.amdhsa_user_sgpr_kernarg_segment_ptr 1
		.amdhsa_user_sgpr_dispatch_id 0
		.amdhsa_user_sgpr_flat_scratch_init 0
		.amdhsa_user_sgpr_private_segment_size 0
		.amdhsa_uses_dynamic_stack 0
		.amdhsa_system_sgpr_private_segment_wavefront_offset 0
		.amdhsa_system_sgpr_workgroup_id_x 1
		.amdhsa_system_sgpr_workgroup_id_y 0
		.amdhsa_system_sgpr_workgroup_id_z 0
		.amdhsa_system_sgpr_workgroup_info 0
		.amdhsa_system_vgpr_workitem_id 2
		.amdhsa_next_free_vgpr 35
		.amdhsa_next_free_sgpr 40
		.amdhsa_reserve_vcc 1
		.amdhsa_reserve_flat_scratch 0
		.amdhsa_float_round_mode_32 0
		.amdhsa_float_round_mode_16_64 0
		.amdhsa_float_denorm_mode_32 3
		.amdhsa_float_denorm_mode_16_64 3
		.amdhsa_dx10_clamp 1
		.amdhsa_ieee_mode 1
		.amdhsa_fp16_overflow 0
		.amdhsa_exception_fp_ieee_invalid_op 0
		.amdhsa_exception_fp_denorm_src 0
		.amdhsa_exception_fp_ieee_div_zero 0
		.amdhsa_exception_fp_ieee_overflow 0
		.amdhsa_exception_fp_ieee_underflow 0
		.amdhsa_exception_fp_ieee_inexact 0
		.amdhsa_exception_int_div_zero 0
	.end_amdhsa_kernel
	.section	.text._Z6kernelI9histogramILN6hipcub23BlockHistogramAlgorithmE1EEiLj320ELj3ELj320ELj100EEvPKT0_PS4_,"axG",@progbits,_Z6kernelI9histogramILN6hipcub23BlockHistogramAlgorithmE1EEiLj320ELj3ELj320ELj100EEvPKT0_PS4_,comdat
.Lfunc_end38:
	.size	_Z6kernelI9histogramILN6hipcub23BlockHistogramAlgorithmE1EEiLj320ELj3ELj320ELj100EEvPKT0_PS4_, .Lfunc_end38-_Z6kernelI9histogramILN6hipcub23BlockHistogramAlgorithmE1EEiLj320ELj3ELj320ELj100EEvPKT0_PS4_
                                        ; -- End function
	.set _Z6kernelI9histogramILN6hipcub23BlockHistogramAlgorithmE1EEiLj320ELj3ELj320ELj100EEvPKT0_PS4_.num_vgpr, 35
	.set _Z6kernelI9histogramILN6hipcub23BlockHistogramAlgorithmE1EEiLj320ELj3ELj320ELj100EEvPKT0_PS4_.num_agpr, 0
	.set _Z6kernelI9histogramILN6hipcub23BlockHistogramAlgorithmE1EEiLj320ELj3ELj320ELj100EEvPKT0_PS4_.numbered_sgpr, 40
	.set _Z6kernelI9histogramILN6hipcub23BlockHistogramAlgorithmE1EEiLj320ELj3ELj320ELj100EEvPKT0_PS4_.num_named_barrier, 0
	.set _Z6kernelI9histogramILN6hipcub23BlockHistogramAlgorithmE1EEiLj320ELj3ELj320ELj100EEvPKT0_PS4_.private_seg_size, 0
	.set _Z6kernelI9histogramILN6hipcub23BlockHistogramAlgorithmE1EEiLj320ELj3ELj320ELj100EEvPKT0_PS4_.uses_vcc, 1
	.set _Z6kernelI9histogramILN6hipcub23BlockHistogramAlgorithmE1EEiLj320ELj3ELj320ELj100EEvPKT0_PS4_.uses_flat_scratch, 0
	.set _Z6kernelI9histogramILN6hipcub23BlockHistogramAlgorithmE1EEiLj320ELj3ELj320ELj100EEvPKT0_PS4_.has_dyn_sized_stack, 0
	.set _Z6kernelI9histogramILN6hipcub23BlockHistogramAlgorithmE1EEiLj320ELj3ELj320ELj100EEvPKT0_PS4_.has_recursion, 0
	.set _Z6kernelI9histogramILN6hipcub23BlockHistogramAlgorithmE1EEiLj320ELj3ELj320ELj100EEvPKT0_PS4_.has_indirect_call, 0
	.section	.AMDGPU.csdata,"",@progbits
; Kernel info:
; codeLenInByte = 2772
; TotalNumSgprs: 44
; NumVgprs: 35
; ScratchSize: 0
; MemoryBound: 0
; FloatMode: 240
; IeeeMode: 1
; LDSByteSize: 6432 bytes/workgroup (compile time only)
; SGPRBlocks: 5
; VGPRBlocks: 8
; NumSGPRsForWavesPerEU: 44
; NumVGPRsForWavesPerEU: 35
; Occupancy: 7
; WaveLimiterHint : 0
; COMPUTE_PGM_RSRC2:SCRATCH_EN: 0
; COMPUTE_PGM_RSRC2:USER_SGPR: 6
; COMPUTE_PGM_RSRC2:TRAP_HANDLER: 0
; COMPUTE_PGM_RSRC2:TGID_X_EN: 1
; COMPUTE_PGM_RSRC2:TGID_Y_EN: 0
; COMPUTE_PGM_RSRC2:TGID_Z_EN: 0
; COMPUTE_PGM_RSRC2:TIDIG_COMP_CNT: 2
	.section	.text._Z6kernelI9histogramILN6hipcub23BlockHistogramAlgorithmE1EEiLj320ELj4ELj320ELj100EEvPKT0_PS4_,"axG",@progbits,_Z6kernelI9histogramILN6hipcub23BlockHistogramAlgorithmE1EEiLj320ELj4ELj320ELj100EEvPKT0_PS4_,comdat
	.protected	_Z6kernelI9histogramILN6hipcub23BlockHistogramAlgorithmE1EEiLj320ELj4ELj320ELj100EEvPKT0_PS4_ ; -- Begin function _Z6kernelI9histogramILN6hipcub23BlockHistogramAlgorithmE1EEiLj320ELj4ELj320ELj100EEvPKT0_PS4_
	.globl	_Z6kernelI9histogramILN6hipcub23BlockHistogramAlgorithmE1EEiLj320ELj4ELj320ELj100EEvPKT0_PS4_
	.p2align	8
	.type	_Z6kernelI9histogramILN6hipcub23BlockHistogramAlgorithmE1EEiLj320ELj4ELj320ELj100EEvPKT0_PS4_,@function
_Z6kernelI9histogramILN6hipcub23BlockHistogramAlgorithmE1EEiLj320ELj4ELj320ELj100EEvPKT0_PS4_: ; @_Z6kernelI9histogramILN6hipcub23BlockHistogramAlgorithmE1EEiLj320ELj4ELj320ELj100EEvPKT0_PS4_
; %bb.0:
	s_mulk_i32 s6, 0x140
	s_load_dwordx4 s[44:47], s[4:5], 0x0
	s_load_dword s10, s[4:5], 0x1c
	v_add_u32_e32 v7, s6, v0
	v_mov_b32_e32 v8, 0
	v_lshlrev_b32_e32 v3, 2, v7
	v_mov_b32_e32 v4, v8
	v_lshlrev_b64 v[3:4], 2, v[3:4]
	s_waitcnt lgkmcnt(0)
	v_mov_b32_e32 v5, s45
	v_add_co_u32_e32 v3, vcc, s44, v3
	v_addc_co_u32_e32 v4, vcc, v5, v4, vcc
	v_mbcnt_lo_u32_b32 v5, -1, 0
	v_mbcnt_hi_u32_b32 v9, -1, v5
	global_load_dwordx4 v[3:6], v[3:4], off
	s_lshr_b32 s11, s10, 16
	s_and_b32 s10, s10, 0xffff
	v_mad_u32_u24 v1, v2, s11, v1
	v_mad_u64_u32 v[1:2], s[10:11], v1, s10, v[0:1]
	v_and_b32_e32 v2, 15, v9
	v_cmp_eq_u32_e64 s[10:11], 0, v2
	v_cmp_lt_u32_e64 s[12:13], 1, v2
	v_cmp_lt_u32_e64 s[14:15], 3, v2
	;; [unrolled: 1-line block ×3, first 2 shown]
	v_and_b32_e32 v2, 16, v9
	v_cmp_eq_u32_e64 s[18:19], 0, v2
	v_and_b32_e32 v2, 0x1c0, v0
	v_min_u32_e32 v2, 0x100, v2
	v_lshrrev_b32_e32 v10, 2, v9
	v_and_b32_e32 v12, 64, v9
	v_or_b32_e32 v2, 63, v2
	v_or_b32_e32 v15, v10, v12
	v_add_u32_e32 v10, 48, v10
	v_cmp_eq_u32_e64 s[22:23], v0, v2
	v_subrev_co_u32_e64 v2, s[28:29], 1, v9
	v_and_or_b32 v20, v10, 63, v12
	v_lshlrev_b32_e32 v10, 2, v0
	v_cmp_lt_i32_e32 vcc, v2, v12
	s_movk_i32 s33, 0x700
	v_and_b32_e32 v11, 3, v9
	v_cmp_lt_u32_e64 s[20:21], 31, v9
	v_cndmask_b32_e32 v2, v2, v9, vcc
	v_and_b32_e32 v12, 7, v9
	v_and_or_b32 v9, v10, s33, v9
	v_cmp_eq_u32_e64 s[36:37], 0, v12
	v_cmp_lt_u32_e64 s[38:39], 1, v12
	v_cmp_lt_u32_e64 s[40:41], 3, v12
	v_lshrrev_b32_e32 v12, 3, v9
	v_lshlrev_b32_e32 v16, 2, v9
	v_add_u32_e32 v13, 64, v9
	v_or_b32_e32 v14, 0x80, v9
	v_add_u32_e32 v9, 0xc0, v9
	v_lshrrev_b32_e32 v13, 3, v13
	v_lshrrev_b32_e32 v14, 3, v14
	;; [unrolled: 1-line block ×3, first 2 shown]
	s_movk_i32 s0, 0x140
	v_cmp_eq_u32_e64 s[2:3], 3, v11
	v_cmp_eq_u32_e64 s[4:5], 2, v11
	;; [unrolled: 1-line block ×4, first 2 shown]
	v_lshlrev_b32_e32 v11, 4, v0
	v_and_b32_e32 v12, 0xec, v12
	v_and_b32_e32 v13, 0xfc, v13
	;; [unrolled: 1-line block ×4, first 2 shown]
	v_cmp_gt_u32_e64 s[0:1], s0, v0
	v_cmp_gt_u32_e64 s[24:25], 5, v0
	v_cmp_lt_u32_e64 s[26:27], 63, v0
	v_cmp_eq_u32_e64 s[30:31], 0, v0
	v_cmp_ne_u32_e64 s[34:35], 0, v0
	v_add_u32_e32 v12, v12, v16
	v_add_u32_e32 v13, v13, v16
	;; [unrolled: 1-line block ×4, first 2 shown]
	v_lshrrev_b32_e32 v9, 4, v0
	v_mad_i32_i24 v17, v0, -12, v11
	v_lshrrev_b32_e32 v0, 1, v0
	v_lshlrev_b32_e32 v18, 2, v15
	v_lshrrev_b32_e32 v1, 4, v1
	v_and_b32_e32 v22, 28, v9
	v_and_b32_e32 v0, 0xfc, v0
	s_mov_b32 s33, 0
	v_add_u32_e32 v19, 64, v18
	v_lshlrev_b32_e32 v20, 2, v20
	v_lshlrev_b32_e32 v21, 2, v2
	v_add_u32_e32 v23, v11, v0
	v_and_b32_e32 v24, 0xffffffc, v1
	v_or_b32_e32 v25, 0x80, v18
	v_add_u32_e32 v26, -4, v22
	v_add_u32_e32 v15, 0x14a0, v10
	v_or_b32_e32 v27, 3, v10
	v_or_b32_e32 v28, 2, v10
	;; [unrolled: 1-line block ×3, first 2 shown]
	v_add_u32_e32 v30, -4, v17
	v_mov_b32_e32 v31, 0x500
	v_mov_b32_e32 v32, 20
	s_branch .LBB39_2
.LBB39_1:                               ;   in Loop: Header=BB39_2 Depth=1
	s_or_b64 exec, exec, s[42:43]
	s_add_i32 s33, s33, 1
	s_cmpk_lg_i32 s33, 0x64
	s_cbranch_scc0 .LBB39_37
.LBB39_2:                               ; =>This Loop Header: Depth=1
                                        ;     Child Loop BB39_6 Depth 2
	s_and_saveexec_b64 s[42:43], s[0:1]
; %bb.3:                                ;   in Loop: Header=BB39_2 Depth=1
	ds_write_b32 v15, v8
; %bb.4:                                ;   in Loop: Header=BB39_2 Depth=1
	s_or_b64 exec, exec, s[42:43]
	s_waitcnt vmcnt(0)
	v_xor_b32_e32 v1, 0x80000000, v3
	v_xor_b32_e32 v2, 0x80000000, v4
	ds_bpermute_b32 v0, v18, v1
	v_xor_b32_e32 v3, 0x80000000, v5
	ds_bpermute_b32 v5, v18, v2
	;; [unrolled: 2-line block ×3, first 2 shown]
	s_waitcnt lgkmcnt(2)
	v_cndmask_b32_e64 v0, 0, v0, s[8:9]
	v_mov_b32_e32 v33, 0
	s_waitcnt lgkmcnt(1)
	v_cndmask_b32_e64 v0, v0, v5, s[6:7]
	ds_bpermute_b32 v5, v18, v3
	s_waitcnt lgkmcnt(0)
	s_barrier
	v_cndmask_b32_e64 v0, v0, v5, s[4:5]
	ds_bpermute_b32 v5, v18, v4
	s_waitcnt lgkmcnt(0)
	s_barrier
	v_cndmask_b32_e64 v0, v0, v5, s[2:3]
	ds_bpermute_b32 v5, v19, v1
	s_waitcnt lgkmcnt(0)
	v_cndmask_b32_e64 v5, 0, v5, s[8:9]
	v_cndmask_b32_e64 v5, v5, v6, s[6:7]
	ds_bpermute_b32 v6, v19, v3
	s_waitcnt lgkmcnt(0)
	v_cndmask_b32_e64 v5, v5, v6, s[4:5]
	ds_bpermute_b32 v6, v19, v4
	s_waitcnt lgkmcnt(0)
	v_cndmask_b32_e64 v9, v5, v6, s[2:3]
	ds_bpermute_b32 v5, v25, v1
	ds_bpermute_b32 v1, v20, v1
	;; [unrolled: 1-line block ×4, first 2 shown]
	s_waitcnt lgkmcnt(3)
	v_cndmask_b32_e64 v5, 0, v5, s[8:9]
	s_waitcnt lgkmcnt(2)
	v_cndmask_b32_e64 v1, 0, v1, s[8:9]
	;; [unrolled: 2-line block ×3, first 2 shown]
	ds_bpermute_b32 v6, v25, v3
	s_waitcnt lgkmcnt(1)
	v_cndmask_b32_e64 v1, v1, v2, s[6:7]
	ds_bpermute_b32 v2, v20, v3
	s_waitcnt lgkmcnt(1)
	v_cndmask_b32_e64 v5, v5, v6, s[4:5]
	;; [unrolled: 3-line block ×4, first 2 shown]
	s_waitcnt lgkmcnt(0)
	v_cndmask_b32_e64 v37, v1, v2, s[2:3]
	s_branch .LBB39_6
.LBB39_5:                               ;   in Loop: Header=BB39_6 Depth=2
	s_andn2_b64 vcc, exec, s[42:43]
	s_cbranch_vccz .LBB39_22
.LBB39_6:                               ;   Parent Loop BB39_2 Depth=1
                                        ; =>  This Inner Loop Header: Depth=2
	v_mov_b32_e32 v34, v0
	v_lshrrev_b32_e32 v0, v33, v34
	v_and_b32_e32 v1, 1, v0
	v_add_co_u32_e32 v3, vcc, -1, v1
	v_mov_b32_e32 v6, v9
	v_addc_co_u32_e64 v9, s[42:43], 0, -1, vcc
	v_cmp_ne_u32_e32 vcc, 0, v1
	v_xor_b32_e32 v1, vcc_hi, v9
	v_lshlrev_b32_e32 v9, 30, v0
	v_xor_b32_e32 v3, vcc_lo, v3
	v_cmp_gt_i64_e32 vcc, 0, v[8:9]
	v_not_b32_e32 v9, v9
	v_ashrrev_i32_e32 v9, 31, v9
	v_and_b32_e32 v3, exec_lo, v3
	v_xor_b32_e32 v35, vcc_hi, v9
	v_xor_b32_e32 v9, vcc_lo, v9
	v_and_b32_e32 v3, v3, v9
	v_lshlrev_b32_e32 v9, 29, v0
	v_cmp_gt_i64_e32 vcc, 0, v[8:9]
	v_not_b32_e32 v9, v9
	v_and_b32_e32 v1, exec_hi, v1
	v_ashrrev_i32_e32 v9, 31, v9
	v_and_b32_e32 v1, v1, v35
	v_xor_b32_e32 v35, vcc_hi, v9
	v_xor_b32_e32 v9, vcc_lo, v9
	v_and_b32_e32 v3, v3, v9
	v_lshlrev_b32_e32 v9, 28, v0
	v_cmp_gt_i64_e32 vcc, 0, v[8:9]
	v_not_b32_e32 v9, v9
	v_ashrrev_i32_e32 v9, 31, v9
	v_and_b32_e32 v1, v1, v35
	v_xor_b32_e32 v35, vcc_hi, v9
	v_xor_b32_e32 v9, vcc_lo, v9
	v_and_b32_e32 v3, v3, v9
	v_lshlrev_b32_e32 v9, 27, v0
	v_cmp_gt_i64_e32 vcc, 0, v[8:9]
	v_not_b32_e32 v9, v9
	;; [unrolled: 8-line block ×4, first 2 shown]
	v_ashrrev_i32_e32 v9, 31, v9
	v_and_b32_e32 v1, v1, v35
	v_xor_b32_e32 v35, vcc_hi, v9
	v_xor_b32_e32 v9, vcc_lo, v9
	v_and_b32_e32 v3, v3, v9
	v_lshlrev_b32_e32 v9, 24, v0
	v_mul_u32_u24_sdwa v2, v0, v32 dst_sel:DWORD dst_unused:UNUSED_PAD src0_sel:BYTE_0 src1_sel:DWORD
	v_cmp_gt_i64_e32 vcc, 0, v[8:9]
	v_not_b32_e32 v0, v9
	v_ashrrev_i32_e32 v0, 31, v0
	v_xor_b32_e32 v9, vcc_hi, v0
	v_xor_b32_e32 v0, vcc_lo, v0
	v_and_b32_e32 v1, v1, v35
	v_and_b32_e32 v0, v3, v0
	;; [unrolled: 1-line block ×3, first 2 shown]
	v_mbcnt_lo_u32_b32 v3, v0, 0
	v_mbcnt_hi_u32_b32 v35, v1, v3
	v_cmp_ne_u64_e32 vcc, 0, v[0:1]
	v_cmp_eq_u32_e64 s[42:43], 0, v35
	v_mov_b32_e32 v4, v37
	v_mov_b32_e32 v5, v36
	s_and_b64 s[44:45], vcc, s[42:43]
	v_add_u32_e32 v36, v24, v2
	ds_write2_b32 v11, v8, v8 offset0:5 offset1:6
	ds_write2_b32 v11, v8, v8 offset0:7 offset1:8
	s_waitcnt lgkmcnt(0)
	s_barrier
	; wave barrier
	s_and_saveexec_b64 s[42:43], s[44:45]
; %bb.7:                                ;   in Loop: Header=BB39_6 Depth=2
	v_bcnt_u32_b32 v0, v0, 0
	v_bcnt_u32_b32 v0, v1, v0
	ds_write_b32 v36, v0 offset:20
; %bb.8:                                ;   in Loop: Header=BB39_6 Depth=2
	s_or_b64 exec, exec, s[42:43]
	v_lshrrev_b32_e32 v0, v33, v6
	v_and_b32_e32 v1, 0xff, v0
	v_mul_u32_u24_e32 v2, 20, v1
	v_mad_u32_u24 v1, v1, 20, v24
	; wave barrier
	ds_read_b32 v37, v1 offset:20
	v_and_b32_e32 v1, 1, v0
	v_add_co_u32_e32 v3, vcc, -1, v1
	v_addc_co_u32_e64 v9, s[42:43], 0, -1, vcc
	v_cmp_ne_u32_e32 vcc, 0, v1
	v_xor_b32_e32 v1, vcc_hi, v9
	v_lshlrev_b32_e32 v9, 30, v0
	v_xor_b32_e32 v3, vcc_lo, v3
	v_cmp_gt_i64_e32 vcc, 0, v[8:9]
	v_not_b32_e32 v9, v9
	v_ashrrev_i32_e32 v9, 31, v9
	v_and_b32_e32 v3, exec_lo, v3
	v_xor_b32_e32 v38, vcc_hi, v9
	v_xor_b32_e32 v9, vcc_lo, v9
	v_and_b32_e32 v3, v3, v9
	v_lshlrev_b32_e32 v9, 29, v0
	v_cmp_gt_i64_e32 vcc, 0, v[8:9]
	v_not_b32_e32 v9, v9
	v_and_b32_e32 v1, exec_hi, v1
	v_ashrrev_i32_e32 v9, 31, v9
	v_and_b32_e32 v1, v1, v38
	v_xor_b32_e32 v38, vcc_hi, v9
	v_xor_b32_e32 v9, vcc_lo, v9
	v_and_b32_e32 v3, v3, v9
	v_lshlrev_b32_e32 v9, 28, v0
	v_cmp_gt_i64_e32 vcc, 0, v[8:9]
	v_not_b32_e32 v9, v9
	v_ashrrev_i32_e32 v9, 31, v9
	v_and_b32_e32 v1, v1, v38
	v_xor_b32_e32 v38, vcc_hi, v9
	v_xor_b32_e32 v9, vcc_lo, v9
	v_and_b32_e32 v3, v3, v9
	v_lshlrev_b32_e32 v9, 27, v0
	v_cmp_gt_i64_e32 vcc, 0, v[8:9]
	v_not_b32_e32 v9, v9
	;; [unrolled: 8-line block ×5, first 2 shown]
	v_ashrrev_i32_e32 v0, 31, v0
	v_xor_b32_e32 v9, vcc_hi, v0
	v_xor_b32_e32 v0, vcc_lo, v0
	v_and_b32_e32 v1, v1, v38
	v_and_b32_e32 v0, v3, v0
	;; [unrolled: 1-line block ×3, first 2 shown]
	v_mbcnt_lo_u32_b32 v3, v0, 0
	v_mbcnt_hi_u32_b32 v38, v1, v3
	v_cmp_ne_u64_e32 vcc, 0, v[0:1]
	v_cmp_eq_u32_e64 s[42:43], 0, v38
	s_and_b64 s[44:45], vcc, s[42:43]
	v_add_u32_e32 v39, v24, v2
	; wave barrier
	s_and_saveexec_b64 s[42:43], s[44:45]
	s_cbranch_execz .LBB39_10
; %bb.9:                                ;   in Loop: Header=BB39_6 Depth=2
	v_bcnt_u32_b32 v0, v0, 0
	v_bcnt_u32_b32 v0, v1, v0
	s_waitcnt lgkmcnt(0)
	v_add_u32_e32 v0, v37, v0
	ds_write_b32 v39, v0 offset:20
.LBB39_10:                              ;   in Loop: Header=BB39_6 Depth=2
	s_or_b64 exec, exec, s[42:43]
	v_lshrrev_b32_e32 v0, v33, v5
	v_and_b32_e32 v1, 0xff, v0
	v_mul_u32_u24_e32 v2, 20, v1
	v_mad_u32_u24 v1, v1, 20, v24
	; wave barrier
	ds_read_b32 v40, v1 offset:20
	v_and_b32_e32 v1, 1, v0
	v_add_co_u32_e32 v3, vcc, -1, v1
	v_addc_co_u32_e64 v9, s[42:43], 0, -1, vcc
	v_cmp_ne_u32_e32 vcc, 0, v1
	v_xor_b32_e32 v1, vcc_hi, v9
	v_lshlrev_b32_e32 v9, 30, v0
	v_xor_b32_e32 v3, vcc_lo, v3
	v_cmp_gt_i64_e32 vcc, 0, v[8:9]
	v_not_b32_e32 v9, v9
	v_ashrrev_i32_e32 v9, 31, v9
	v_and_b32_e32 v3, exec_lo, v3
	v_xor_b32_e32 v41, vcc_hi, v9
	v_xor_b32_e32 v9, vcc_lo, v9
	v_and_b32_e32 v3, v3, v9
	v_lshlrev_b32_e32 v9, 29, v0
	v_cmp_gt_i64_e32 vcc, 0, v[8:9]
	v_not_b32_e32 v9, v9
	v_and_b32_e32 v1, exec_hi, v1
	v_ashrrev_i32_e32 v9, 31, v9
	v_and_b32_e32 v1, v1, v41
	v_xor_b32_e32 v41, vcc_hi, v9
	v_xor_b32_e32 v9, vcc_lo, v9
	v_and_b32_e32 v3, v3, v9
	v_lshlrev_b32_e32 v9, 28, v0
	v_cmp_gt_i64_e32 vcc, 0, v[8:9]
	v_not_b32_e32 v9, v9
	v_ashrrev_i32_e32 v9, 31, v9
	v_and_b32_e32 v1, v1, v41
	v_xor_b32_e32 v41, vcc_hi, v9
	v_xor_b32_e32 v9, vcc_lo, v9
	v_and_b32_e32 v3, v3, v9
	v_lshlrev_b32_e32 v9, 27, v0
	v_cmp_gt_i64_e32 vcc, 0, v[8:9]
	v_not_b32_e32 v9, v9
	v_ashrrev_i32_e32 v9, 31, v9
	v_and_b32_e32 v1, v1, v41
	v_xor_b32_e32 v41, vcc_hi, v9
	v_xor_b32_e32 v9, vcc_lo, v9
	v_and_b32_e32 v3, v3, v9
	v_lshlrev_b32_e32 v9, 26, v0
	v_cmp_gt_i64_e32 vcc, 0, v[8:9]
	v_not_b32_e32 v9, v9
	v_ashrrev_i32_e32 v9, 31, v9
	v_and_b32_e32 v1, v1, v41
	v_xor_b32_e32 v41, vcc_hi, v9
	v_xor_b32_e32 v9, vcc_lo, v9
	v_and_b32_e32 v3, v3, v9
	v_lshlrev_b32_e32 v9, 25, v0
	v_cmp_gt_i64_e32 vcc, 0, v[8:9]
	v_not_b32_e32 v9, v9
	v_ashrrev_i32_e32 v9, 31, v9
	v_and_b32_e32 v1, v1, v41
	v_xor_b32_e32 v41, vcc_hi, v9
	v_xor_b32_e32 v9, vcc_lo, v9
	v_and_b32_e32 v3, v3, v9
	v_lshlrev_b32_e32 v9, 24, v0
	v_cmp_gt_i64_e32 vcc, 0, v[8:9]
	v_not_b32_e32 v0, v9
	v_ashrrev_i32_e32 v0, 31, v0
	v_xor_b32_e32 v9, vcc_hi, v0
	v_xor_b32_e32 v0, vcc_lo, v0
	v_and_b32_e32 v1, v1, v41
	v_and_b32_e32 v0, v3, v0
	;; [unrolled: 1-line block ×3, first 2 shown]
	v_mbcnt_lo_u32_b32 v3, v0, 0
	v_mbcnt_hi_u32_b32 v41, v1, v3
	v_cmp_ne_u64_e32 vcc, 0, v[0:1]
	v_cmp_eq_u32_e64 s[42:43], 0, v41
	s_and_b64 s[44:45], vcc, s[42:43]
	v_add_u32_e32 v42, v24, v2
	; wave barrier
	s_and_saveexec_b64 s[42:43], s[44:45]
	s_cbranch_execz .LBB39_12
; %bb.11:                               ;   in Loop: Header=BB39_6 Depth=2
	v_bcnt_u32_b32 v0, v0, 0
	v_bcnt_u32_b32 v0, v1, v0
	s_waitcnt lgkmcnt(0)
	v_add_u32_e32 v0, v40, v0
	ds_write_b32 v42, v0 offset:20
.LBB39_12:                              ;   in Loop: Header=BB39_6 Depth=2
	s_or_b64 exec, exec, s[42:43]
	v_lshrrev_b32_e32 v0, v33, v4
	v_and_b32_e32 v1, 0xff, v0
	v_mul_u32_u24_e32 v2, 20, v1
	v_mad_u32_u24 v1, v1, 20, v24
	; wave barrier
	ds_read_b32 v43, v1 offset:20
	v_and_b32_e32 v1, 1, v0
	v_add_co_u32_e32 v3, vcc, -1, v1
	v_addc_co_u32_e64 v9, s[42:43], 0, -1, vcc
	v_cmp_ne_u32_e32 vcc, 0, v1
	v_xor_b32_e32 v1, vcc_hi, v9
	v_lshlrev_b32_e32 v9, 30, v0
	v_xor_b32_e32 v3, vcc_lo, v3
	v_cmp_gt_i64_e32 vcc, 0, v[8:9]
	v_not_b32_e32 v9, v9
	v_ashrrev_i32_e32 v9, 31, v9
	v_and_b32_e32 v3, exec_lo, v3
	v_xor_b32_e32 v44, vcc_hi, v9
	v_xor_b32_e32 v9, vcc_lo, v9
	v_and_b32_e32 v3, v3, v9
	v_lshlrev_b32_e32 v9, 29, v0
	v_cmp_gt_i64_e32 vcc, 0, v[8:9]
	v_not_b32_e32 v9, v9
	v_and_b32_e32 v1, exec_hi, v1
	v_ashrrev_i32_e32 v9, 31, v9
	v_and_b32_e32 v1, v1, v44
	v_xor_b32_e32 v44, vcc_hi, v9
	v_xor_b32_e32 v9, vcc_lo, v9
	v_and_b32_e32 v3, v3, v9
	v_lshlrev_b32_e32 v9, 28, v0
	v_cmp_gt_i64_e32 vcc, 0, v[8:9]
	v_not_b32_e32 v9, v9
	v_ashrrev_i32_e32 v9, 31, v9
	v_and_b32_e32 v1, v1, v44
	v_xor_b32_e32 v44, vcc_hi, v9
	v_xor_b32_e32 v9, vcc_lo, v9
	v_and_b32_e32 v3, v3, v9
	v_lshlrev_b32_e32 v9, 27, v0
	v_cmp_gt_i64_e32 vcc, 0, v[8:9]
	v_not_b32_e32 v9, v9
	;; [unrolled: 8-line block ×5, first 2 shown]
	v_ashrrev_i32_e32 v0, 31, v0
	v_xor_b32_e32 v9, vcc_hi, v0
	v_xor_b32_e32 v0, vcc_lo, v0
	v_and_b32_e32 v1, v1, v44
	v_and_b32_e32 v0, v3, v0
	;; [unrolled: 1-line block ×3, first 2 shown]
	v_mbcnt_lo_u32_b32 v3, v0, 0
	v_mbcnt_hi_u32_b32 v9, v1, v3
	v_cmp_ne_u64_e32 vcc, 0, v[0:1]
	v_cmp_eq_u32_e64 s[42:43], 0, v9
	s_and_b64 s[44:45], vcc, s[42:43]
	v_add_u32_e32 v44, v24, v2
	; wave barrier
	s_and_saveexec_b64 s[42:43], s[44:45]
	s_cbranch_execz .LBB39_14
; %bb.13:                               ;   in Loop: Header=BB39_6 Depth=2
	v_bcnt_u32_b32 v0, v0, 0
	v_bcnt_u32_b32 v0, v1, v0
	s_waitcnt lgkmcnt(0)
	v_add_u32_e32 v0, v43, v0
	ds_write_b32 v44, v0 offset:20
.LBB39_14:                              ;   in Loop: Header=BB39_6 Depth=2
	s_or_b64 exec, exec, s[42:43]
	; wave barrier
	s_waitcnt lgkmcnt(0)
	s_barrier
	ds_read2_b32 v[2:3], v11 offset0:5 offset1:6
	ds_read2_b32 v[0:1], v11 offset0:7 offset1:8
	s_waitcnt lgkmcnt(1)
	v_add_u32_e32 v45, v3, v2
	s_waitcnt lgkmcnt(0)
	v_add3_u32 v1, v45, v0, v1
	s_nop 1
	v_mov_b32_dpp v45, v1 row_shr:1 row_mask:0xf bank_mask:0xf
	v_cndmask_b32_e64 v45, v45, 0, s[10:11]
	v_add_u32_e32 v1, v45, v1
	s_nop 1
	v_mov_b32_dpp v45, v1 row_shr:2 row_mask:0xf bank_mask:0xf
	v_cndmask_b32_e64 v45, 0, v45, s[12:13]
	v_add_u32_e32 v1, v1, v45
	;; [unrolled: 4-line block ×4, first 2 shown]
	s_nop 1
	v_mov_b32_dpp v45, v1 row_bcast:15 row_mask:0xf bank_mask:0xf
	v_cndmask_b32_e64 v45, v45, 0, s[18:19]
	v_add_u32_e32 v1, v1, v45
	s_nop 1
	v_mov_b32_dpp v45, v1 row_bcast:31 row_mask:0xf bank_mask:0xf
	v_cndmask_b32_e64 v45, 0, v45, s[20:21]
	v_add_u32_e32 v1, v1, v45
	s_and_saveexec_b64 s[42:43], s[22:23]
; %bb.15:                               ;   in Loop: Header=BB39_6 Depth=2
	ds_write_b32 v22, v1
; %bb.16:                               ;   in Loop: Header=BB39_6 Depth=2
	s_or_b64 exec, exec, s[42:43]
	s_waitcnt lgkmcnt(0)
	s_barrier
	s_and_saveexec_b64 s[42:43], s[24:25]
	s_cbranch_execz .LBB39_18
; %bb.17:                               ;   in Loop: Header=BB39_6 Depth=2
	ds_read_b32 v45, v17
	s_waitcnt lgkmcnt(0)
	s_nop 0
	v_mov_b32_dpp v46, v45 row_shr:1 row_mask:0xf bank_mask:0xf
	v_cndmask_b32_e64 v46, v46, 0, s[36:37]
	v_add_u32_e32 v45, v46, v45
	s_nop 1
	v_mov_b32_dpp v46, v45 row_shr:2 row_mask:0xf bank_mask:0xf
	v_cndmask_b32_e64 v46, 0, v46, s[38:39]
	v_add_u32_e32 v45, v45, v46
	;; [unrolled: 4-line block ×3, first 2 shown]
	ds_write_b32 v17, v45
.LBB39_18:                              ;   in Loop: Header=BB39_6 Depth=2
	s_or_b64 exec, exec, s[42:43]
	v_mov_b32_e32 v45, 0
	s_waitcnt lgkmcnt(0)
	s_barrier
	s_and_saveexec_b64 s[42:43], s[26:27]
; %bb.19:                               ;   in Loop: Header=BB39_6 Depth=2
	ds_read_b32 v45, v26
; %bb.20:                               ;   in Loop: Header=BB39_6 Depth=2
	s_or_b64 exec, exec, s[42:43]
	s_waitcnt lgkmcnt(0)
	v_add_u32_e32 v1, v45, v1
	ds_bpermute_b32 v1, v21, v1
	v_cmp_lt_u32_e32 vcc, 23, v33
	s_and_b64 vcc, exec, vcc
	s_mov_b64 s[42:43], -1
	s_waitcnt lgkmcnt(0)
	v_cndmask_b32_e64 v1, v1, v45, s[28:29]
	v_cndmask_b32_e64 v1, v1, 0, s[30:31]
	v_add_u32_e32 v2, v1, v2
	v_add_u32_e32 v3, v2, v3
	;; [unrolled: 1-line block ×3, first 2 shown]
	ds_write2_b32 v11, v1, v2 offset0:5 offset1:6
	ds_write2_b32 v11, v3, v0 offset0:7 offset1:8
	s_waitcnt lgkmcnt(0)
	s_barrier
	ds_read_b32 v0, v36 offset:20
	ds_read_b32 v1, v39 offset:20
	;; [unrolled: 1-line block ×4, first 2 shown]
	s_waitcnt lgkmcnt(3)
	v_add_u32_e32 v35, v0, v35
	s_waitcnt lgkmcnt(2)
	v_add3_u32 v3, v38, v37, v1
	s_waitcnt lgkmcnt(1)
	v_add3_u32 v2, v41, v40, v2
	;; [unrolled: 2-line block ×3, first 2 shown]
                                        ; implicit-def: $vgpr37
                                        ; implicit-def: $vgpr36
                                        ; implicit-def: $vgpr9
                                        ; implicit-def: $vgpr0
	s_cbranch_vccnz .LBB39_5
; %bb.21:                               ;   in Loop: Header=BB39_6 Depth=2
	v_lshrrev_b32_e32 v0, 3, v35
	v_and_b32_e32 v0, 0x1ffffffc, v0
	v_lshl_add_u32 v0, v35, 2, v0
	s_barrier
	ds_write_b32 v0, v34
	v_lshrrev_b32_e32 v0, 3, v3
	v_and_b32_e32 v0, 0x1ffffffc, v0
	v_lshl_add_u32 v0, v3, 2, v0
	ds_write_b32 v0, v6
	v_lshrrev_b32_e32 v0, 3, v2
	v_and_b32_e32 v0, 0x1ffffffc, v0
	v_lshl_add_u32 v0, v2, 2, v0
	;; [unrolled: 4-line block ×3, first 2 shown]
	ds_write_b32 v0, v4
	s_waitcnt lgkmcnt(0)
	s_barrier
	ds_read_b32 v0, v12
	ds_read_b32 v9, v13 offset:256
	ds_read_b32 v36, v14 offset:512
	ds_read_b32 v37, v16 offset:768
	v_add_u32_e32 v33, 8, v33
	s_mov_b64 s[42:43], 0
	s_waitcnt lgkmcnt(0)
	s_barrier
	s_branch .LBB39_5
.LBB39_22:                              ;   in Loop: Header=BB39_2 Depth=1
	v_lshrrev_b32_e32 v0, 3, v35
	v_and_b32_e32 v0, 0x1ffffffc, v0
	v_lshl_add_u32 v0, v35, 2, v0
	s_barrier
	ds_write_b32 v0, v34
	v_lshrrev_b32_e32 v0, 3, v3
	v_and_b32_e32 v0, 0x1ffffffc, v0
	v_lshl_add_u32 v0, v3, 2, v0
	ds_write_b32 v0, v6
	v_lshrrev_b32_e32 v0, 3, v2
	v_and_b32_e32 v0, 0x1ffffffc, v0
	v_lshl_add_u32 v0, v2, 2, v0
	ds_write_b32 v0, v5
	v_lshrrev_b32_e32 v0, 3, v1
	v_and_b32_e32 v0, 0x1ffffffc, v0
	v_lshl_add_u32 v0, v1, 2, v0
	ds_write_b32 v0, v4
	s_waitcnt lgkmcnt(0)
	s_barrier
	ds_read2_b32 v[0:1], v23 offset1:1
	ds_read2_b32 v[2:3], v23 offset0:2 offset1:3
	s_waitcnt lgkmcnt(0)
	s_barrier
	s_and_saveexec_b64 s[42:43], s[0:1]
; %bb.23:                               ;   in Loop: Header=BB39_2 Depth=1
	ds_write2st64_b32 v17, v31, v31 offset0:10 offset1:15
; %bb.24:                               ;   in Loop: Header=BB39_2 Depth=1
	s_or_b64 exec, exec, s[42:43]
	v_xor_b32_e32 v6, 0x80000000, v3
	v_xor_b32_e32 v5, 0x80000000, v2
	v_cmp_ne_u32_e32 vcc, v2, v3
	v_mov_b32_e32 v3, v6
	s_waitcnt lgkmcnt(0)
	s_barrier
	ds_write_b32 v17, v6
	s_and_saveexec_b64 s[42:43], vcc
	s_cbranch_execz .LBB39_26
; %bb.25:                               ;   in Loop: Header=BB39_2 Depth=1
	v_lshlrev_b32_e32 v2, 2, v6
	v_lshlrev_b32_e32 v3, 2, v5
	ds_write_b32 v2, v27 offset:2560
	ds_write_b32 v3, v27 offset:3840
	v_mov_b32_e32 v3, v5
.LBB39_26:                              ;   in Loop: Header=BB39_2 Depth=1
	s_or_b64 exec, exec, s[42:43]
	v_xor_b32_e32 v4, 0x80000000, v1
	v_cmp_ne_u32_e32 vcc, v4, v3
	v_lshlrev_b32_e32 v2, 2, v4
	s_and_saveexec_b64 s[42:43], vcc
	s_cbranch_execz .LBB39_28
; %bb.27:                               ;   in Loop: Header=BB39_2 Depth=1
	v_lshlrev_b32_e32 v3, 2, v3
	ds_write_b32 v3, v28 offset:2560
	ds_write_b32 v2, v28 offset:3840
.LBB39_28:                              ;   in Loop: Header=BB39_2 Depth=1
	s_or_b64 exec, exec, s[42:43]
	v_xor_b32_e32 v3, 0x80000000, v0
	v_cmp_ne_u32_e32 vcc, v0, v1
	v_lshlrev_b32_e32 v0, 2, v3
	s_and_saveexec_b64 s[42:43], vcc
	s_cbranch_execz .LBB39_30
; %bb.29:                               ;   in Loop: Header=BB39_2 Depth=1
	ds_write_b32 v2, v29 offset:2560
	ds_write_b32 v0, v29 offset:3840
.LBB39_30:                              ;   in Loop: Header=BB39_2 Depth=1
	s_or_b64 exec, exec, s[42:43]
	s_waitcnt lgkmcnt(0)
	s_barrier
	s_and_saveexec_b64 s[42:43], s[34:35]
	s_cbranch_execz .LBB39_33
; %bb.31:                               ;   in Loop: Header=BB39_2 Depth=1
	ds_read_b32 v1, v30
	s_waitcnt lgkmcnt(0)
	v_cmp_ne_u32_e32 vcc, v1, v3
	s_and_b64 exec, exec, vcc
	s_cbranch_execz .LBB39_33
; %bb.32:                               ;   in Loop: Header=BB39_2 Depth=1
	ds_write_b32 v0, v10 offset:2560
	ds_read_b32 v1, v30
	s_waitcnt lgkmcnt(0)
	v_lshlrev_b32_e32 v1, 2, v1
	ds_write_b32 v1, v10 offset:3840
.LBB39_33:                              ;   in Loop: Header=BB39_2 Depth=1
	s_or_b64 exec, exec, s[42:43]
	s_waitcnt lgkmcnt(0)
	s_barrier
	s_and_saveexec_b64 s[42:43], s[30:31]
; %bb.34:                               ;   in Loop: Header=BB39_2 Depth=1
	ds_write_b32 v0, v8 offset:2560
; %bb.35:                               ;   in Loop: Header=BB39_2 Depth=1
	s_or_b64 exec, exec, s[42:43]
	s_waitcnt lgkmcnt(0)
	s_barrier
	s_and_saveexec_b64 s[42:43], s[0:1]
	s_cbranch_execz .LBB39_1
; %bb.36:                               ;   in Loop: Header=BB39_2 Depth=1
	ds_read2st64_b32 v[0:1], v17 offset0:10 offset1:15
	ds_read_b32 v2, v15
	s_waitcnt lgkmcnt(1)
	v_sub_u32_e32 v0, v1, v0
	s_waitcnt lgkmcnt(0)
	v_add_u32_e32 v0, v0, v2
	ds_write_b32 v15, v0
	s_branch .LBB39_1
.LBB39_37:
	s_and_saveexec_b64 s[2:3], s[0:1]
	s_cbranch_execz .LBB39_39
; %bb.38:
	v_mov_b32_e32 v8, 0
	ds_read_b32 v3, v15
	v_lshlrev_b64 v[0:1], 2, v[7:8]
	v_mov_b32_e32 v2, s47
	v_add_co_u32_e32 v0, vcc, s46, v0
	v_addc_co_u32_e32 v1, vcc, v2, v1, vcc
	s_waitcnt lgkmcnt(0)
	global_store_dword v[0:1], v3, off
.LBB39_39:
	s_endpgm
	.section	.rodata,"a",@progbits
	.p2align	6, 0x0
	.amdhsa_kernel _Z6kernelI9histogramILN6hipcub23BlockHistogramAlgorithmE1EEiLj320ELj4ELj320ELj100EEvPKT0_PS4_
		.amdhsa_group_segment_fixed_size 6560
		.amdhsa_private_segment_fixed_size 0
		.amdhsa_kernarg_size 272
		.amdhsa_user_sgpr_count 6
		.amdhsa_user_sgpr_private_segment_buffer 1
		.amdhsa_user_sgpr_dispatch_ptr 0
		.amdhsa_user_sgpr_queue_ptr 0
		.amdhsa_user_sgpr_kernarg_segment_ptr 1
		.amdhsa_user_sgpr_dispatch_id 0
		.amdhsa_user_sgpr_flat_scratch_init 0
		.amdhsa_user_sgpr_private_segment_size 0
		.amdhsa_uses_dynamic_stack 0
		.amdhsa_system_sgpr_private_segment_wavefront_offset 0
		.amdhsa_system_sgpr_workgroup_id_x 1
		.amdhsa_system_sgpr_workgroup_id_y 0
		.amdhsa_system_sgpr_workgroup_id_z 0
		.amdhsa_system_sgpr_workgroup_info 0
		.amdhsa_system_vgpr_workitem_id 2
		.amdhsa_next_free_vgpr 47
		.amdhsa_next_free_sgpr 48
		.amdhsa_reserve_vcc 1
		.amdhsa_reserve_flat_scratch 0
		.amdhsa_float_round_mode_32 0
		.amdhsa_float_round_mode_16_64 0
		.amdhsa_float_denorm_mode_32 3
		.amdhsa_float_denorm_mode_16_64 3
		.amdhsa_dx10_clamp 1
		.amdhsa_ieee_mode 1
		.amdhsa_fp16_overflow 0
		.amdhsa_exception_fp_ieee_invalid_op 0
		.amdhsa_exception_fp_denorm_src 0
		.amdhsa_exception_fp_ieee_div_zero 0
		.amdhsa_exception_fp_ieee_overflow 0
		.amdhsa_exception_fp_ieee_underflow 0
		.amdhsa_exception_fp_ieee_inexact 0
		.amdhsa_exception_int_div_zero 0
	.end_amdhsa_kernel
	.section	.text._Z6kernelI9histogramILN6hipcub23BlockHistogramAlgorithmE1EEiLj320ELj4ELj320ELj100EEvPKT0_PS4_,"axG",@progbits,_Z6kernelI9histogramILN6hipcub23BlockHistogramAlgorithmE1EEiLj320ELj4ELj320ELj100EEvPKT0_PS4_,comdat
.Lfunc_end39:
	.size	_Z6kernelI9histogramILN6hipcub23BlockHistogramAlgorithmE1EEiLj320ELj4ELj320ELj100EEvPKT0_PS4_, .Lfunc_end39-_Z6kernelI9histogramILN6hipcub23BlockHistogramAlgorithmE1EEiLj320ELj4ELj320ELj100EEvPKT0_PS4_
                                        ; -- End function
	.set _Z6kernelI9histogramILN6hipcub23BlockHistogramAlgorithmE1EEiLj320ELj4ELj320ELj100EEvPKT0_PS4_.num_vgpr, 47
	.set _Z6kernelI9histogramILN6hipcub23BlockHistogramAlgorithmE1EEiLj320ELj4ELj320ELj100EEvPKT0_PS4_.num_agpr, 0
	.set _Z6kernelI9histogramILN6hipcub23BlockHistogramAlgorithmE1EEiLj320ELj4ELj320ELj100EEvPKT0_PS4_.numbered_sgpr, 48
	.set _Z6kernelI9histogramILN6hipcub23BlockHistogramAlgorithmE1EEiLj320ELj4ELj320ELj100EEvPKT0_PS4_.num_named_barrier, 0
	.set _Z6kernelI9histogramILN6hipcub23BlockHistogramAlgorithmE1EEiLj320ELj4ELj320ELj100EEvPKT0_PS4_.private_seg_size, 0
	.set _Z6kernelI9histogramILN6hipcub23BlockHistogramAlgorithmE1EEiLj320ELj4ELj320ELj100EEvPKT0_PS4_.uses_vcc, 1
	.set _Z6kernelI9histogramILN6hipcub23BlockHistogramAlgorithmE1EEiLj320ELj4ELj320ELj100EEvPKT0_PS4_.uses_flat_scratch, 0
	.set _Z6kernelI9histogramILN6hipcub23BlockHistogramAlgorithmE1EEiLj320ELj4ELj320ELj100EEvPKT0_PS4_.has_dyn_sized_stack, 0
	.set _Z6kernelI9histogramILN6hipcub23BlockHistogramAlgorithmE1EEiLj320ELj4ELj320ELj100EEvPKT0_PS4_.has_recursion, 0
	.set _Z6kernelI9histogramILN6hipcub23BlockHistogramAlgorithmE1EEiLj320ELj4ELj320ELj100EEvPKT0_PS4_.has_indirect_call, 0
	.section	.AMDGPU.csdata,"",@progbits
; Kernel info:
; codeLenInByte = 3708
; TotalNumSgprs: 52
; NumVgprs: 47
; ScratchSize: 0
; MemoryBound: 0
; FloatMode: 240
; IeeeMode: 1
; LDSByteSize: 6560 bytes/workgroup (compile time only)
; SGPRBlocks: 6
; VGPRBlocks: 11
; NumSGPRsForWavesPerEU: 52
; NumVGPRsForWavesPerEU: 47
; Occupancy: 5
; WaveLimiterHint : 0
; COMPUTE_PGM_RSRC2:SCRATCH_EN: 0
; COMPUTE_PGM_RSRC2:USER_SGPR: 6
; COMPUTE_PGM_RSRC2:TRAP_HANDLER: 0
; COMPUTE_PGM_RSRC2:TGID_X_EN: 1
; COMPUTE_PGM_RSRC2:TGID_Y_EN: 0
; COMPUTE_PGM_RSRC2:TGID_Z_EN: 0
; COMPUTE_PGM_RSRC2:TIDIG_COMP_CNT: 2
	.section	.text._Z6kernelI9histogramILN6hipcub23BlockHistogramAlgorithmE1EEiLj320ELj8ELj320ELj100EEvPKT0_PS4_,"axG",@progbits,_Z6kernelI9histogramILN6hipcub23BlockHistogramAlgorithmE1EEiLj320ELj8ELj320ELj100EEvPKT0_PS4_,comdat
	.protected	_Z6kernelI9histogramILN6hipcub23BlockHistogramAlgorithmE1EEiLj320ELj8ELj320ELj100EEvPKT0_PS4_ ; -- Begin function _Z6kernelI9histogramILN6hipcub23BlockHistogramAlgorithmE1EEiLj320ELj8ELj320ELj100EEvPKT0_PS4_
	.globl	_Z6kernelI9histogramILN6hipcub23BlockHistogramAlgorithmE1EEiLj320ELj8ELj320ELj100EEvPKT0_PS4_
	.p2align	8
	.type	_Z6kernelI9histogramILN6hipcub23BlockHistogramAlgorithmE1EEiLj320ELj8ELj320ELj100EEvPKT0_PS4_,@function
_Z6kernelI9histogramILN6hipcub23BlockHistogramAlgorithmE1EEiLj320ELj8ELj320ELj100EEvPKT0_PS4_: ; @_Z6kernelI9histogramILN6hipcub23BlockHistogramAlgorithmE1EEiLj320ELj8ELj320ELj100EEvPKT0_PS4_
; %bb.0:
	s_mulk_i32 s6, 0x140
	s_load_dwordx4 s[36:39], s[4:5], 0x0
	s_load_dword s2, s[4:5], 0x1c
	v_add_u32_e32 v11, s6, v0
	v_mov_b32_e32 v12, 0
	v_lshlrev_b32_e32 v3, 3, v11
	v_mov_b32_e32 v4, v12
	v_lshlrev_b64 v[3:4], 2, v[3:4]
	v_and_b32_e32 v25, 0x1c0, v0
	s_waitcnt lgkmcnt(0)
	v_add_co_u32_e32 v17, vcc, s36, v3
	v_mbcnt_lo_u32_b32 v3, -1, 0
	v_mbcnt_hi_u32_b32 v13, -1, v3
	v_mov_b32_e32 v5, s37
	v_lshlrev_b32_e32 v14, 3, v0
	v_add_u32_e32 v3, v13, v25
	s_movk_i32 s3, 0xe00
	v_addc_co_u32_e32 v18, vcc, v5, v4, vcc
	v_and_b32_e32 v4, 0x3fc, v3
	v_and_or_b32 v23, v14, s3, v13
	v_lshl_add_u32 v15, v3, 5, v4
	v_lshrrev_b32_e32 v3, 3, v23
	v_and_b32_e32 v3, 0x1cc, v3
	v_lshlrev_b32_e32 v24, 2, v23
	v_add_u32_e32 v16, v3, v24
	global_load_dwordx4 v[7:10], v[17:18], off
	global_load_dwordx4 v[3:6], v[17:18], off offset:16
	s_lshr_b32 s3, s2, 16
	s_and_b32 s2, s2, 0xffff
	v_mad_u32_u24 v1, v2, s3, v1
	v_mad_u64_u32 v[1:2], s[2:3], v1, s2, v[0:1]
	v_and_b32_e32 v2, 15, v13
	v_cmp_eq_u32_e64 s[2:3], 0, v2
	v_cmp_lt_u32_e64 s[4:5], 1, v2
	v_cmp_lt_u32_e64 s[6:7], 3, v2
	;; [unrolled: 1-line block ×3, first 2 shown]
	v_and_b32_e32 v2, 16, v13
	v_cmp_eq_u32_e64 s[10:11], 0, v2
	v_min_u32_e32 v2, 0x100, v25
	v_or_b32_e32 v2, 63, v2
	v_cmp_eq_u32_e64 s[14:15], v0, v2
	v_subrev_co_u32_e64 v2, s[20:21], 1, v13
	v_and_b32_e32 v25, 64, v13
	v_cmp_lt_i32_e32 vcc, v2, v25
	v_cndmask_b32_e32 v2, v2, v13, vcc
	v_add_u32_e32 v17, 64, v23
	v_or_b32_e32 v18, 0x80, v23
	v_add_u32_e32 v19, 0xc0, v23
	v_or_b32_e32 v20, 0x100, v23
	;; [unrolled: 2-line block ×3, first 2 shown]
	v_add_u32_e32 v23, 0x1c0, v23
	v_lshlrev_b32_e32 v26, 2, v2
	v_lshrrev_b32_e32 v2, 4, v0
	v_lshrrev_b32_e32 v17, 3, v17
	v_lshrrev_b32_e32 v18, 3, v18
	v_lshrrev_b32_e32 v19, 3, v19
	v_lshrrev_b32_e32 v20, 3, v20
	v_lshrrev_b32_e32 v21, 3, v21
	v_lshrrev_b32_e32 v22, 3, v22
	v_lshrrev_b32_e32 v23, 3, v23
	v_and_b32_e32 v27, 28, v2
	v_and_b32_e32 v2, 7, v13
	;; [unrolled: 1-line block ×9, first 2 shown]
	v_cmp_eq_u32_e64 s[26:27], 0, v2
	v_cmp_lt_u32_e64 s[28:29], 1, v2
	v_cmp_lt_u32_e64 s[30:31], 3, v2
	v_and_b32_e32 v2, 0x1fc, v0
	s_movk_i32 s0, 0x140
	v_add_u32_e32 v17, v17, v24
	v_add_u32_e32 v18, v18, v24
	;; [unrolled: 1-line block ×7, first 2 shown]
	v_lshlrev_b32_e32 v24, 4, v0
	v_lshl_add_u32 v30, v0, 5, v2
	v_mov_b32_e32 v2, 0x2940
	v_cmp_gt_u32_e64 s[0:1], s0, v0
	v_cmp_gt_u32_e64 s[16:17], 5, v0
	v_cmp_lt_u32_e64 s[18:19], 63, v0
	v_cmp_eq_u32_e64 s[22:23], 0, v0
	v_cmp_ne_u32_e64 s[24:25], 0, v0
	v_mad_i32_i24 v28, v0, -12, v24
	v_lshl_add_u32 v25, v0, 2, v2
	v_lshrrev_b32_e32 v0, 4, v1
	s_mov_b32 s33, 0
	v_cmp_lt_u32_e64 s[12:13], 31, v13
	v_add_u32_e32 v29, -4, v27
	v_or_b32_e32 v31, 7, v14
	v_or_b32_e32 v32, 6, v14
	;; [unrolled: 1-line block ×7, first 2 shown]
	v_add_u32_e32 v38, -4, v28
	v_and_b32_e32 v39, 0xffffffc, v0
	v_mov_b32_e32 v40, 0xa00
	v_mov_b32_e32 v41, 20
	s_branch .LBB40_2
.LBB40_1:                               ;   in Loop: Header=BB40_2 Depth=1
	s_or_b64 exec, exec, s[34:35]
	s_add_i32 s33, s33, 1
	s_cmpk_lg_i32 s33, 0x64
	s_cbranch_scc0 .LBB40_53
.LBB40_2:                               ; =>This Loop Header: Depth=1
                                        ;     Child Loop BB40_6 Depth 2
	s_and_saveexec_b64 s[34:35], s[0:1]
; %bb.3:                                ;   in Loop: Header=BB40_2 Depth=1
	ds_write_b32 v25, v12
; %bb.4:                                ;   in Loop: Header=BB40_2 Depth=1
	s_or_b64 exec, exec, s[34:35]
	s_waitcnt vmcnt(1)
	v_xor_b32_e32 v0, 0x80000000, v7
	v_xor_b32_e32 v1, 0x80000000, v8
	s_waitcnt vmcnt(0) lgkmcnt(0)
	s_barrier
	v_xor_b32_e32 v2, 0x80000000, v9
	v_xor_b32_e32 v7, 0x80000000, v10
	;; [unrolled: 1-line block ×6, first 2 shown]
	ds_write2_b32 v15, v0, v1 offset1:1
	ds_write2_b32 v15, v2, v7 offset0:2 offset1:3
	ds_write2_b32 v15, v3, v4 offset0:4 offset1:5
	;; [unrolled: 1-line block ×3, first 2 shown]
	; wave barrier
	ds_read_b32 v47, v16
	ds_read_b32 v48, v17 offset:256
	ds_read_b32 v49, v18 offset:512
	;; [unrolled: 1-line block ×7, first 2 shown]
	v_mov_b32_e32 v9, 0
	s_waitcnt lgkmcnt(0)
	s_barrier
	; wave barrier
	s_barrier
	s_branch .LBB40_6
.LBB40_5:                               ;   in Loop: Header=BB40_6 Depth=2
	s_andn2_b64 vcc, exec, s[34:35]
	s_cbranch_vccz .LBB40_30
.LBB40_6:                               ;   Parent Loop BB40_2 Depth=1
                                        ; =>  This Inner Loop Header: Depth=2
	v_mov_b32_e32 v43, v47
	v_lshrrev_b32_e32 v0, v9, v43
	v_and_b32_e32 v1, 1, v0
	v_add_co_u32_e32 v3, vcc, -1, v1
	v_addc_co_u32_e64 v13, s[34:35], 0, -1, vcc
	v_cmp_ne_u32_e32 vcc, 0, v1
	v_xor_b32_e32 v1, vcc_hi, v13
	v_lshlrev_b32_e32 v13, 30, v0
	v_xor_b32_e32 v3, vcc_lo, v3
	v_cmp_gt_i64_e32 vcc, 0, v[12:13]
	v_not_b32_e32 v13, v13
	v_ashrrev_i32_e32 v13, 31, v13
	v_and_b32_e32 v3, exec_lo, v3
	v_xor_b32_e32 v44, vcc_hi, v13
	v_xor_b32_e32 v13, vcc_lo, v13
	v_and_b32_e32 v3, v3, v13
	v_lshlrev_b32_e32 v13, 29, v0
	v_cmp_gt_i64_e32 vcc, 0, v[12:13]
	v_not_b32_e32 v13, v13
	v_and_b32_e32 v1, exec_hi, v1
	v_ashrrev_i32_e32 v13, 31, v13
	v_and_b32_e32 v1, v1, v44
	v_xor_b32_e32 v44, vcc_hi, v13
	v_xor_b32_e32 v13, vcc_lo, v13
	v_and_b32_e32 v3, v3, v13
	v_lshlrev_b32_e32 v13, 28, v0
	v_cmp_gt_i64_e32 vcc, 0, v[12:13]
	v_not_b32_e32 v13, v13
	v_ashrrev_i32_e32 v13, 31, v13
	v_and_b32_e32 v1, v1, v44
	v_xor_b32_e32 v44, vcc_hi, v13
	v_xor_b32_e32 v13, vcc_lo, v13
	v_and_b32_e32 v3, v3, v13
	v_lshlrev_b32_e32 v13, 27, v0
	v_cmp_gt_i64_e32 vcc, 0, v[12:13]
	v_not_b32_e32 v13, v13
	;; [unrolled: 8-line block ×4, first 2 shown]
	v_ashrrev_i32_e32 v13, 31, v13
	v_and_b32_e32 v1, v1, v44
	v_xor_b32_e32 v44, vcc_hi, v13
	v_xor_b32_e32 v13, vcc_lo, v13
	v_and_b32_e32 v3, v3, v13
	v_lshlrev_b32_e32 v13, 24, v0
	v_mul_u32_u24_sdwa v2, v0, v41 dst_sel:DWORD dst_unused:UNUSED_PAD src0_sel:BYTE_0 src1_sel:DWORD
	v_cmp_gt_i64_e32 vcc, 0, v[12:13]
	v_not_b32_e32 v0, v13
	v_ashrrev_i32_e32 v0, 31, v0
	v_xor_b32_e32 v13, vcc_hi, v0
	v_xor_b32_e32 v0, vcc_lo, v0
	v_and_b32_e32 v1, v1, v44
	v_and_b32_e32 v0, v3, v0
	;; [unrolled: 1-line block ×3, first 2 shown]
	v_mbcnt_lo_u32_b32 v3, v0, 0
	v_mbcnt_hi_u32_b32 v44, v1, v3
	v_cmp_ne_u64_e32 vcc, 0, v[0:1]
	v_cmp_eq_u32_e64 s[34:35], 0, v44
	v_mov_b32_e32 v4, v54
	v_mov_b32_e32 v5, v53
	;; [unrolled: 1-line block ×7, first 2 shown]
	s_and_b64 s[36:37], vcc, s[34:35]
	v_add_u32_e32 v45, v39, v2
	ds_write2_b32 v24, v12, v12 offset0:5 offset1:6
	ds_write2_b32 v24, v12, v12 offset0:7 offset1:8
	s_waitcnt lgkmcnt(0)
	s_barrier
	; wave barrier
	s_and_saveexec_b64 s[34:35], s[36:37]
; %bb.7:                                ;   in Loop: Header=BB40_6 Depth=2
	v_bcnt_u32_b32 v0, v0, 0
	v_bcnt_u32_b32 v0, v1, v0
	ds_write_b32 v45, v0 offset:20
; %bb.8:                                ;   in Loop: Header=BB40_6 Depth=2
	s_or_b64 exec, exec, s[34:35]
	v_lshrrev_b32_e32 v0, v9, v42
	v_and_b32_e32 v1, 0xff, v0
	v_mul_u32_u24_e32 v2, 20, v1
	v_mad_u32_u24 v1, v1, 20, v39
	; wave barrier
	ds_read_b32 v46, v1 offset:20
	v_and_b32_e32 v1, 1, v0
	v_add_co_u32_e32 v3, vcc, -1, v1
	v_addc_co_u32_e64 v13, s[34:35], 0, -1, vcc
	v_cmp_ne_u32_e32 vcc, 0, v1
	v_xor_b32_e32 v1, vcc_hi, v13
	v_lshlrev_b32_e32 v13, 30, v0
	v_xor_b32_e32 v3, vcc_lo, v3
	v_cmp_gt_i64_e32 vcc, 0, v[12:13]
	v_not_b32_e32 v13, v13
	v_ashrrev_i32_e32 v13, 31, v13
	v_and_b32_e32 v3, exec_lo, v3
	v_xor_b32_e32 v47, vcc_hi, v13
	v_xor_b32_e32 v13, vcc_lo, v13
	v_and_b32_e32 v3, v3, v13
	v_lshlrev_b32_e32 v13, 29, v0
	v_cmp_gt_i64_e32 vcc, 0, v[12:13]
	v_not_b32_e32 v13, v13
	v_and_b32_e32 v1, exec_hi, v1
	v_ashrrev_i32_e32 v13, 31, v13
	v_and_b32_e32 v1, v1, v47
	v_xor_b32_e32 v47, vcc_hi, v13
	v_xor_b32_e32 v13, vcc_lo, v13
	v_and_b32_e32 v3, v3, v13
	v_lshlrev_b32_e32 v13, 28, v0
	v_cmp_gt_i64_e32 vcc, 0, v[12:13]
	v_not_b32_e32 v13, v13
	v_ashrrev_i32_e32 v13, 31, v13
	v_and_b32_e32 v1, v1, v47
	v_xor_b32_e32 v47, vcc_hi, v13
	v_xor_b32_e32 v13, vcc_lo, v13
	v_and_b32_e32 v3, v3, v13
	v_lshlrev_b32_e32 v13, 27, v0
	v_cmp_gt_i64_e32 vcc, 0, v[12:13]
	v_not_b32_e32 v13, v13
	;; [unrolled: 8-line block ×5, first 2 shown]
	v_ashrrev_i32_e32 v0, 31, v0
	v_xor_b32_e32 v13, vcc_hi, v0
	v_xor_b32_e32 v0, vcc_lo, v0
	v_and_b32_e32 v1, v1, v47
	v_and_b32_e32 v0, v3, v0
	;; [unrolled: 1-line block ×3, first 2 shown]
	v_mbcnt_lo_u32_b32 v3, v0, 0
	v_mbcnt_hi_u32_b32 v47, v1, v3
	v_cmp_ne_u64_e32 vcc, 0, v[0:1]
	v_cmp_eq_u32_e64 s[34:35], 0, v47
	s_and_b64 s[36:37], vcc, s[34:35]
	v_add_u32_e32 v48, v39, v2
	; wave barrier
	s_and_saveexec_b64 s[34:35], s[36:37]
	s_cbranch_execz .LBB40_10
; %bb.9:                                ;   in Loop: Header=BB40_6 Depth=2
	v_bcnt_u32_b32 v0, v0, 0
	v_bcnt_u32_b32 v0, v1, v0
	s_waitcnt lgkmcnt(0)
	v_add_u32_e32 v0, v46, v0
	ds_write_b32 v48, v0 offset:20
.LBB40_10:                              ;   in Loop: Header=BB40_6 Depth=2
	s_or_b64 exec, exec, s[34:35]
	v_lshrrev_b32_e32 v0, v9, v10
	v_and_b32_e32 v1, 0xff, v0
	v_mul_u32_u24_e32 v2, 20, v1
	v_mad_u32_u24 v1, v1, 20, v39
	; wave barrier
	ds_read_b32 v49, v1 offset:20
	v_and_b32_e32 v1, 1, v0
	v_add_co_u32_e32 v3, vcc, -1, v1
	v_addc_co_u32_e64 v13, s[34:35], 0, -1, vcc
	v_cmp_ne_u32_e32 vcc, 0, v1
	v_xor_b32_e32 v1, vcc_hi, v13
	v_lshlrev_b32_e32 v13, 30, v0
	v_xor_b32_e32 v3, vcc_lo, v3
	v_cmp_gt_i64_e32 vcc, 0, v[12:13]
	v_not_b32_e32 v13, v13
	v_ashrrev_i32_e32 v13, 31, v13
	v_and_b32_e32 v3, exec_lo, v3
	v_xor_b32_e32 v50, vcc_hi, v13
	v_xor_b32_e32 v13, vcc_lo, v13
	v_and_b32_e32 v3, v3, v13
	v_lshlrev_b32_e32 v13, 29, v0
	v_cmp_gt_i64_e32 vcc, 0, v[12:13]
	v_not_b32_e32 v13, v13
	v_and_b32_e32 v1, exec_hi, v1
	v_ashrrev_i32_e32 v13, 31, v13
	v_and_b32_e32 v1, v1, v50
	v_xor_b32_e32 v50, vcc_hi, v13
	v_xor_b32_e32 v13, vcc_lo, v13
	v_and_b32_e32 v3, v3, v13
	v_lshlrev_b32_e32 v13, 28, v0
	v_cmp_gt_i64_e32 vcc, 0, v[12:13]
	v_not_b32_e32 v13, v13
	v_ashrrev_i32_e32 v13, 31, v13
	v_and_b32_e32 v1, v1, v50
	v_xor_b32_e32 v50, vcc_hi, v13
	v_xor_b32_e32 v13, vcc_lo, v13
	v_and_b32_e32 v3, v3, v13
	v_lshlrev_b32_e32 v13, 27, v0
	v_cmp_gt_i64_e32 vcc, 0, v[12:13]
	v_not_b32_e32 v13, v13
	;; [unrolled: 8-line block ×5, first 2 shown]
	v_ashrrev_i32_e32 v0, 31, v0
	v_xor_b32_e32 v13, vcc_hi, v0
	v_xor_b32_e32 v0, vcc_lo, v0
	v_and_b32_e32 v1, v1, v50
	v_and_b32_e32 v0, v3, v0
	;; [unrolled: 1-line block ×3, first 2 shown]
	v_mbcnt_lo_u32_b32 v3, v0, 0
	v_mbcnt_hi_u32_b32 v50, v1, v3
	v_cmp_ne_u64_e32 vcc, 0, v[0:1]
	v_cmp_eq_u32_e64 s[34:35], 0, v50
	s_and_b64 s[36:37], vcc, s[34:35]
	v_add_u32_e32 v51, v39, v2
	; wave barrier
	s_and_saveexec_b64 s[34:35], s[36:37]
	s_cbranch_execz .LBB40_12
; %bb.11:                               ;   in Loop: Header=BB40_6 Depth=2
	v_bcnt_u32_b32 v0, v0, 0
	v_bcnt_u32_b32 v0, v1, v0
	s_waitcnt lgkmcnt(0)
	v_add_u32_e32 v0, v49, v0
	ds_write_b32 v51, v0 offset:20
.LBB40_12:                              ;   in Loop: Header=BB40_6 Depth=2
	s_or_b64 exec, exec, s[34:35]
	v_lshrrev_b32_e32 v0, v9, v8
	v_and_b32_e32 v1, 0xff, v0
	v_mul_u32_u24_e32 v2, 20, v1
	v_mad_u32_u24 v1, v1, 20, v39
	; wave barrier
	ds_read_b32 v52, v1 offset:20
	v_and_b32_e32 v1, 1, v0
	v_add_co_u32_e32 v3, vcc, -1, v1
	v_addc_co_u32_e64 v13, s[34:35], 0, -1, vcc
	v_cmp_ne_u32_e32 vcc, 0, v1
	v_xor_b32_e32 v1, vcc_hi, v13
	v_lshlrev_b32_e32 v13, 30, v0
	v_xor_b32_e32 v3, vcc_lo, v3
	v_cmp_gt_i64_e32 vcc, 0, v[12:13]
	v_not_b32_e32 v13, v13
	v_ashrrev_i32_e32 v13, 31, v13
	v_and_b32_e32 v3, exec_lo, v3
	v_xor_b32_e32 v53, vcc_hi, v13
	v_xor_b32_e32 v13, vcc_lo, v13
	v_and_b32_e32 v3, v3, v13
	v_lshlrev_b32_e32 v13, 29, v0
	v_cmp_gt_i64_e32 vcc, 0, v[12:13]
	v_not_b32_e32 v13, v13
	v_and_b32_e32 v1, exec_hi, v1
	v_ashrrev_i32_e32 v13, 31, v13
	v_and_b32_e32 v1, v1, v53
	v_xor_b32_e32 v53, vcc_hi, v13
	v_xor_b32_e32 v13, vcc_lo, v13
	v_and_b32_e32 v3, v3, v13
	v_lshlrev_b32_e32 v13, 28, v0
	v_cmp_gt_i64_e32 vcc, 0, v[12:13]
	v_not_b32_e32 v13, v13
	v_ashrrev_i32_e32 v13, 31, v13
	v_and_b32_e32 v1, v1, v53
	v_xor_b32_e32 v53, vcc_hi, v13
	v_xor_b32_e32 v13, vcc_lo, v13
	v_and_b32_e32 v3, v3, v13
	v_lshlrev_b32_e32 v13, 27, v0
	v_cmp_gt_i64_e32 vcc, 0, v[12:13]
	v_not_b32_e32 v13, v13
	v_ashrrev_i32_e32 v13, 31, v13
	v_and_b32_e32 v1, v1, v53
	v_xor_b32_e32 v53, vcc_hi, v13
	v_xor_b32_e32 v13, vcc_lo, v13
	v_and_b32_e32 v3, v3, v13
	v_lshlrev_b32_e32 v13, 26, v0
	v_cmp_gt_i64_e32 vcc, 0, v[12:13]
	v_not_b32_e32 v13, v13
	v_ashrrev_i32_e32 v13, 31, v13
	v_and_b32_e32 v1, v1, v53
	v_xor_b32_e32 v53, vcc_hi, v13
	v_xor_b32_e32 v13, vcc_lo, v13
	v_and_b32_e32 v3, v3, v13
	v_lshlrev_b32_e32 v13, 25, v0
	v_cmp_gt_i64_e32 vcc, 0, v[12:13]
	v_not_b32_e32 v13, v13
	v_ashrrev_i32_e32 v13, 31, v13
	v_and_b32_e32 v1, v1, v53
	v_xor_b32_e32 v53, vcc_hi, v13
	v_xor_b32_e32 v13, vcc_lo, v13
	v_and_b32_e32 v3, v3, v13
	v_lshlrev_b32_e32 v13, 24, v0
	v_cmp_gt_i64_e32 vcc, 0, v[12:13]
	v_not_b32_e32 v0, v13
	v_ashrrev_i32_e32 v0, 31, v0
	v_xor_b32_e32 v13, vcc_hi, v0
	v_xor_b32_e32 v0, vcc_lo, v0
	v_and_b32_e32 v1, v1, v53
	v_and_b32_e32 v0, v3, v0
	v_and_b32_e32 v1, v1, v13
	v_mbcnt_lo_u32_b32 v3, v0, 0
	v_mbcnt_hi_u32_b32 v53, v1, v3
	v_cmp_ne_u64_e32 vcc, 0, v[0:1]
	v_cmp_eq_u32_e64 s[34:35], 0, v53
	s_and_b64 s[36:37], vcc, s[34:35]
	v_add_u32_e32 v54, v39, v2
	; wave barrier
	s_and_saveexec_b64 s[34:35], s[36:37]
	s_cbranch_execz .LBB40_14
; %bb.13:                               ;   in Loop: Header=BB40_6 Depth=2
	v_bcnt_u32_b32 v0, v0, 0
	v_bcnt_u32_b32 v0, v1, v0
	s_waitcnt lgkmcnt(0)
	v_add_u32_e32 v0, v52, v0
	ds_write_b32 v54, v0 offset:20
.LBB40_14:                              ;   in Loop: Header=BB40_6 Depth=2
	s_or_b64 exec, exec, s[34:35]
	v_lshrrev_b32_e32 v0, v9, v7
	v_and_b32_e32 v1, 0xff, v0
	v_mul_u32_u24_e32 v2, 20, v1
	v_mad_u32_u24 v1, v1, 20, v39
	; wave barrier
	ds_read_b32 v55, v1 offset:20
	v_and_b32_e32 v1, 1, v0
	v_add_co_u32_e32 v3, vcc, -1, v1
	v_addc_co_u32_e64 v13, s[34:35], 0, -1, vcc
	v_cmp_ne_u32_e32 vcc, 0, v1
	v_xor_b32_e32 v1, vcc_hi, v13
	v_lshlrev_b32_e32 v13, 30, v0
	v_xor_b32_e32 v3, vcc_lo, v3
	v_cmp_gt_i64_e32 vcc, 0, v[12:13]
	v_not_b32_e32 v13, v13
	v_ashrrev_i32_e32 v13, 31, v13
	v_and_b32_e32 v3, exec_lo, v3
	v_xor_b32_e32 v56, vcc_hi, v13
	v_xor_b32_e32 v13, vcc_lo, v13
	v_and_b32_e32 v3, v3, v13
	v_lshlrev_b32_e32 v13, 29, v0
	v_cmp_gt_i64_e32 vcc, 0, v[12:13]
	v_not_b32_e32 v13, v13
	v_and_b32_e32 v1, exec_hi, v1
	v_ashrrev_i32_e32 v13, 31, v13
	v_and_b32_e32 v1, v1, v56
	v_xor_b32_e32 v56, vcc_hi, v13
	v_xor_b32_e32 v13, vcc_lo, v13
	v_and_b32_e32 v3, v3, v13
	v_lshlrev_b32_e32 v13, 28, v0
	v_cmp_gt_i64_e32 vcc, 0, v[12:13]
	v_not_b32_e32 v13, v13
	v_ashrrev_i32_e32 v13, 31, v13
	v_and_b32_e32 v1, v1, v56
	v_xor_b32_e32 v56, vcc_hi, v13
	v_xor_b32_e32 v13, vcc_lo, v13
	v_and_b32_e32 v3, v3, v13
	v_lshlrev_b32_e32 v13, 27, v0
	v_cmp_gt_i64_e32 vcc, 0, v[12:13]
	v_not_b32_e32 v13, v13
	;; [unrolled: 8-line block ×5, first 2 shown]
	v_ashrrev_i32_e32 v0, 31, v0
	v_xor_b32_e32 v13, vcc_hi, v0
	v_xor_b32_e32 v0, vcc_lo, v0
	v_and_b32_e32 v1, v1, v56
	v_and_b32_e32 v0, v3, v0
	v_and_b32_e32 v1, v1, v13
	v_mbcnt_lo_u32_b32 v3, v0, 0
	v_mbcnt_hi_u32_b32 v56, v1, v3
	v_cmp_ne_u64_e32 vcc, 0, v[0:1]
	v_cmp_eq_u32_e64 s[34:35], 0, v56
	s_and_b64 s[36:37], vcc, s[34:35]
	v_add_u32_e32 v57, v39, v2
	; wave barrier
	s_and_saveexec_b64 s[34:35], s[36:37]
	s_cbranch_execz .LBB40_16
; %bb.15:                               ;   in Loop: Header=BB40_6 Depth=2
	v_bcnt_u32_b32 v0, v0, 0
	v_bcnt_u32_b32 v0, v1, v0
	s_waitcnt lgkmcnt(0)
	v_add_u32_e32 v0, v55, v0
	ds_write_b32 v57, v0 offset:20
.LBB40_16:                              ;   in Loop: Header=BB40_6 Depth=2
	s_or_b64 exec, exec, s[34:35]
	v_lshrrev_b32_e32 v0, v9, v6
	v_and_b32_e32 v1, 0xff, v0
	v_mul_u32_u24_e32 v2, 20, v1
	v_mad_u32_u24 v1, v1, 20, v39
	; wave barrier
	ds_read_b32 v58, v1 offset:20
	v_and_b32_e32 v1, 1, v0
	v_add_co_u32_e32 v3, vcc, -1, v1
	v_addc_co_u32_e64 v13, s[34:35], 0, -1, vcc
	v_cmp_ne_u32_e32 vcc, 0, v1
	v_xor_b32_e32 v1, vcc_hi, v13
	v_lshlrev_b32_e32 v13, 30, v0
	v_xor_b32_e32 v3, vcc_lo, v3
	v_cmp_gt_i64_e32 vcc, 0, v[12:13]
	v_not_b32_e32 v13, v13
	v_ashrrev_i32_e32 v13, 31, v13
	v_and_b32_e32 v3, exec_lo, v3
	v_xor_b32_e32 v59, vcc_hi, v13
	v_xor_b32_e32 v13, vcc_lo, v13
	v_and_b32_e32 v3, v3, v13
	v_lshlrev_b32_e32 v13, 29, v0
	v_cmp_gt_i64_e32 vcc, 0, v[12:13]
	v_not_b32_e32 v13, v13
	v_and_b32_e32 v1, exec_hi, v1
	v_ashrrev_i32_e32 v13, 31, v13
	v_and_b32_e32 v1, v1, v59
	v_xor_b32_e32 v59, vcc_hi, v13
	v_xor_b32_e32 v13, vcc_lo, v13
	v_and_b32_e32 v3, v3, v13
	v_lshlrev_b32_e32 v13, 28, v0
	v_cmp_gt_i64_e32 vcc, 0, v[12:13]
	v_not_b32_e32 v13, v13
	v_ashrrev_i32_e32 v13, 31, v13
	v_and_b32_e32 v1, v1, v59
	v_xor_b32_e32 v59, vcc_hi, v13
	v_xor_b32_e32 v13, vcc_lo, v13
	v_and_b32_e32 v3, v3, v13
	v_lshlrev_b32_e32 v13, 27, v0
	v_cmp_gt_i64_e32 vcc, 0, v[12:13]
	v_not_b32_e32 v13, v13
	;; [unrolled: 8-line block ×5, first 2 shown]
	v_ashrrev_i32_e32 v0, 31, v0
	v_xor_b32_e32 v13, vcc_hi, v0
	v_xor_b32_e32 v0, vcc_lo, v0
	v_and_b32_e32 v1, v1, v59
	v_and_b32_e32 v0, v3, v0
	;; [unrolled: 1-line block ×3, first 2 shown]
	v_mbcnt_lo_u32_b32 v3, v0, 0
	v_mbcnt_hi_u32_b32 v59, v1, v3
	v_cmp_ne_u64_e32 vcc, 0, v[0:1]
	v_cmp_eq_u32_e64 s[34:35], 0, v59
	s_and_b64 s[36:37], vcc, s[34:35]
	v_add_u32_e32 v60, v39, v2
	; wave barrier
	s_and_saveexec_b64 s[34:35], s[36:37]
	s_cbranch_execz .LBB40_18
; %bb.17:                               ;   in Loop: Header=BB40_6 Depth=2
	v_bcnt_u32_b32 v0, v0, 0
	v_bcnt_u32_b32 v0, v1, v0
	s_waitcnt lgkmcnt(0)
	v_add_u32_e32 v0, v58, v0
	ds_write_b32 v60, v0 offset:20
.LBB40_18:                              ;   in Loop: Header=BB40_6 Depth=2
	s_or_b64 exec, exec, s[34:35]
	v_lshrrev_b32_e32 v0, v9, v5
	v_and_b32_e32 v1, 0xff, v0
	v_mul_u32_u24_e32 v2, 20, v1
	v_mad_u32_u24 v1, v1, 20, v39
	; wave barrier
	ds_read_b32 v61, v1 offset:20
	v_and_b32_e32 v1, 1, v0
	v_add_co_u32_e32 v3, vcc, -1, v1
	v_addc_co_u32_e64 v13, s[34:35], 0, -1, vcc
	v_cmp_ne_u32_e32 vcc, 0, v1
	v_xor_b32_e32 v1, vcc_hi, v13
	v_lshlrev_b32_e32 v13, 30, v0
	v_xor_b32_e32 v3, vcc_lo, v3
	v_cmp_gt_i64_e32 vcc, 0, v[12:13]
	v_not_b32_e32 v13, v13
	v_ashrrev_i32_e32 v13, 31, v13
	v_and_b32_e32 v3, exec_lo, v3
	v_xor_b32_e32 v62, vcc_hi, v13
	v_xor_b32_e32 v13, vcc_lo, v13
	v_and_b32_e32 v3, v3, v13
	v_lshlrev_b32_e32 v13, 29, v0
	v_cmp_gt_i64_e32 vcc, 0, v[12:13]
	v_not_b32_e32 v13, v13
	v_and_b32_e32 v1, exec_hi, v1
	v_ashrrev_i32_e32 v13, 31, v13
	v_and_b32_e32 v1, v1, v62
	v_xor_b32_e32 v62, vcc_hi, v13
	v_xor_b32_e32 v13, vcc_lo, v13
	v_and_b32_e32 v3, v3, v13
	v_lshlrev_b32_e32 v13, 28, v0
	v_cmp_gt_i64_e32 vcc, 0, v[12:13]
	v_not_b32_e32 v13, v13
	v_ashrrev_i32_e32 v13, 31, v13
	v_and_b32_e32 v1, v1, v62
	v_xor_b32_e32 v62, vcc_hi, v13
	v_xor_b32_e32 v13, vcc_lo, v13
	v_and_b32_e32 v3, v3, v13
	v_lshlrev_b32_e32 v13, 27, v0
	v_cmp_gt_i64_e32 vcc, 0, v[12:13]
	v_not_b32_e32 v13, v13
	v_ashrrev_i32_e32 v13, 31, v13
	v_and_b32_e32 v1, v1, v62
	v_xor_b32_e32 v62, vcc_hi, v13
	v_xor_b32_e32 v13, vcc_lo, v13
	v_and_b32_e32 v3, v3, v13
	v_lshlrev_b32_e32 v13, 26, v0
	v_cmp_gt_i64_e32 vcc, 0, v[12:13]
	v_not_b32_e32 v13, v13
	v_ashrrev_i32_e32 v13, 31, v13
	v_and_b32_e32 v1, v1, v62
	v_xor_b32_e32 v62, vcc_hi, v13
	v_xor_b32_e32 v13, vcc_lo, v13
	v_and_b32_e32 v3, v3, v13
	v_lshlrev_b32_e32 v13, 25, v0
	v_cmp_gt_i64_e32 vcc, 0, v[12:13]
	v_not_b32_e32 v13, v13
	v_ashrrev_i32_e32 v13, 31, v13
	v_and_b32_e32 v1, v1, v62
	v_xor_b32_e32 v62, vcc_hi, v13
	v_xor_b32_e32 v13, vcc_lo, v13
	v_and_b32_e32 v3, v3, v13
	v_lshlrev_b32_e32 v13, 24, v0
	v_cmp_gt_i64_e32 vcc, 0, v[12:13]
	v_not_b32_e32 v0, v13
	v_ashrrev_i32_e32 v0, 31, v0
	v_xor_b32_e32 v13, vcc_hi, v0
	v_xor_b32_e32 v0, vcc_lo, v0
	v_and_b32_e32 v1, v1, v62
	v_and_b32_e32 v0, v3, v0
	;; [unrolled: 1-line block ×3, first 2 shown]
	v_mbcnt_lo_u32_b32 v3, v0, 0
	v_mbcnt_hi_u32_b32 v62, v1, v3
	v_cmp_ne_u64_e32 vcc, 0, v[0:1]
	v_cmp_eq_u32_e64 s[34:35], 0, v62
	s_and_b64 s[36:37], vcc, s[34:35]
	v_add_u32_e32 v63, v39, v2
	; wave barrier
	s_and_saveexec_b64 s[34:35], s[36:37]
	s_cbranch_execz .LBB40_20
; %bb.19:                               ;   in Loop: Header=BB40_6 Depth=2
	v_bcnt_u32_b32 v0, v0, 0
	v_bcnt_u32_b32 v0, v1, v0
	s_waitcnt lgkmcnt(0)
	v_add_u32_e32 v0, v61, v0
	ds_write_b32 v63, v0 offset:20
.LBB40_20:                              ;   in Loop: Header=BB40_6 Depth=2
	s_or_b64 exec, exec, s[34:35]
	v_lshrrev_b32_e32 v0, v9, v4
	v_and_b32_e32 v1, 0xff, v0
	v_mul_u32_u24_e32 v2, 20, v1
	v_mad_u32_u24 v1, v1, 20, v39
	; wave barrier
	ds_read_b32 v64, v1 offset:20
	v_and_b32_e32 v1, 1, v0
	v_add_co_u32_e32 v3, vcc, -1, v1
	v_addc_co_u32_e64 v13, s[34:35], 0, -1, vcc
	v_cmp_ne_u32_e32 vcc, 0, v1
	v_xor_b32_e32 v1, vcc_hi, v13
	v_lshlrev_b32_e32 v13, 30, v0
	v_xor_b32_e32 v3, vcc_lo, v3
	v_cmp_gt_i64_e32 vcc, 0, v[12:13]
	v_not_b32_e32 v13, v13
	v_ashrrev_i32_e32 v13, 31, v13
	v_and_b32_e32 v3, exec_lo, v3
	v_xor_b32_e32 v65, vcc_hi, v13
	v_xor_b32_e32 v13, vcc_lo, v13
	v_and_b32_e32 v3, v3, v13
	v_lshlrev_b32_e32 v13, 29, v0
	v_cmp_gt_i64_e32 vcc, 0, v[12:13]
	v_not_b32_e32 v13, v13
	v_and_b32_e32 v1, exec_hi, v1
	v_ashrrev_i32_e32 v13, 31, v13
	v_and_b32_e32 v1, v1, v65
	v_xor_b32_e32 v65, vcc_hi, v13
	v_xor_b32_e32 v13, vcc_lo, v13
	v_and_b32_e32 v3, v3, v13
	v_lshlrev_b32_e32 v13, 28, v0
	v_cmp_gt_i64_e32 vcc, 0, v[12:13]
	v_not_b32_e32 v13, v13
	v_ashrrev_i32_e32 v13, 31, v13
	v_and_b32_e32 v1, v1, v65
	v_xor_b32_e32 v65, vcc_hi, v13
	v_xor_b32_e32 v13, vcc_lo, v13
	v_and_b32_e32 v3, v3, v13
	v_lshlrev_b32_e32 v13, 27, v0
	v_cmp_gt_i64_e32 vcc, 0, v[12:13]
	v_not_b32_e32 v13, v13
	;; [unrolled: 8-line block ×5, first 2 shown]
	v_ashrrev_i32_e32 v0, 31, v0
	v_xor_b32_e32 v13, vcc_hi, v0
	v_xor_b32_e32 v0, vcc_lo, v0
	v_and_b32_e32 v1, v1, v65
	v_and_b32_e32 v0, v3, v0
	;; [unrolled: 1-line block ×3, first 2 shown]
	v_mbcnt_lo_u32_b32 v3, v0, 0
	v_mbcnt_hi_u32_b32 v65, v1, v3
	v_cmp_ne_u64_e32 vcc, 0, v[0:1]
	v_cmp_eq_u32_e64 s[34:35], 0, v65
	s_and_b64 s[36:37], vcc, s[34:35]
	v_add_u32_e32 v66, v39, v2
	; wave barrier
	s_and_saveexec_b64 s[34:35], s[36:37]
	s_cbranch_execz .LBB40_22
; %bb.21:                               ;   in Loop: Header=BB40_6 Depth=2
	v_bcnt_u32_b32 v0, v0, 0
	v_bcnt_u32_b32 v0, v1, v0
	s_waitcnt lgkmcnt(0)
	v_add_u32_e32 v0, v64, v0
	ds_write_b32 v66, v0 offset:20
.LBB40_22:                              ;   in Loop: Header=BB40_6 Depth=2
	s_or_b64 exec, exec, s[34:35]
	; wave barrier
	s_waitcnt lgkmcnt(0)
	s_barrier
	ds_read2_b32 v[2:3], v24 offset0:5 offset1:6
	ds_read2_b32 v[0:1], v24 offset0:7 offset1:8
	s_waitcnt lgkmcnt(1)
	v_add_u32_e32 v13, v3, v2
	s_waitcnt lgkmcnt(0)
	v_add3_u32 v1, v13, v0, v1
	s_nop 1
	v_mov_b32_dpp v13, v1 row_shr:1 row_mask:0xf bank_mask:0xf
	v_cndmask_b32_e64 v13, v13, 0, s[2:3]
	v_add_u32_e32 v1, v13, v1
	s_nop 1
	v_mov_b32_dpp v13, v1 row_shr:2 row_mask:0xf bank_mask:0xf
	v_cndmask_b32_e64 v13, 0, v13, s[4:5]
	v_add_u32_e32 v1, v1, v13
	;; [unrolled: 4-line block ×4, first 2 shown]
	s_nop 1
	v_mov_b32_dpp v13, v1 row_bcast:15 row_mask:0xf bank_mask:0xf
	v_cndmask_b32_e64 v13, v13, 0, s[10:11]
	v_add_u32_e32 v1, v1, v13
	s_nop 1
	v_mov_b32_dpp v13, v1 row_bcast:31 row_mask:0xf bank_mask:0xf
	v_cndmask_b32_e64 v13, 0, v13, s[12:13]
	v_add_u32_e32 v1, v1, v13
	s_and_saveexec_b64 s[34:35], s[14:15]
; %bb.23:                               ;   in Loop: Header=BB40_6 Depth=2
	ds_write_b32 v27, v1
; %bb.24:                               ;   in Loop: Header=BB40_6 Depth=2
	s_or_b64 exec, exec, s[34:35]
	s_waitcnt lgkmcnt(0)
	s_barrier
	s_and_saveexec_b64 s[34:35], s[16:17]
	s_cbranch_execz .LBB40_26
; %bb.25:                               ;   in Loop: Header=BB40_6 Depth=2
	ds_read_b32 v13, v28
	s_waitcnt lgkmcnt(0)
	s_nop 0
	v_mov_b32_dpp v67, v13 row_shr:1 row_mask:0xf bank_mask:0xf
	v_cndmask_b32_e64 v67, v67, 0, s[26:27]
	v_add_u32_e32 v13, v67, v13
	s_nop 1
	v_mov_b32_dpp v67, v13 row_shr:2 row_mask:0xf bank_mask:0xf
	v_cndmask_b32_e64 v67, 0, v67, s[28:29]
	v_add_u32_e32 v13, v13, v67
	;; [unrolled: 4-line block ×3, first 2 shown]
	ds_write_b32 v28, v13
.LBB40_26:                              ;   in Loop: Header=BB40_6 Depth=2
	s_or_b64 exec, exec, s[34:35]
	v_mov_b32_e32 v13, 0
	s_waitcnt lgkmcnt(0)
	s_barrier
	s_and_saveexec_b64 s[34:35], s[18:19]
; %bb.27:                               ;   in Loop: Header=BB40_6 Depth=2
	ds_read_b32 v13, v29
; %bb.28:                               ;   in Loop: Header=BB40_6 Depth=2
	s_or_b64 exec, exec, s[34:35]
	s_waitcnt lgkmcnt(0)
	v_add_u32_e32 v1, v13, v1
	ds_bpermute_b32 v1, v26, v1
	v_cmp_lt_u32_e32 vcc, 23, v9
	s_and_b64 vcc, exec, vcc
	s_mov_b64 s[34:35], -1
	s_waitcnt lgkmcnt(0)
	v_cndmask_b32_e64 v1, v1, v13, s[20:21]
	v_cndmask_b32_e64 v1, v1, 0, s[22:23]
	v_add_u32_e32 v2, v1, v2
	v_add_u32_e32 v3, v2, v3
	;; [unrolled: 1-line block ×3, first 2 shown]
	ds_write2_b32 v24, v1, v2 offset0:5 offset1:6
	ds_write2_b32 v24, v3, v0 offset0:7 offset1:8
	s_waitcnt lgkmcnt(0)
	s_barrier
	ds_read_b32 v0, v45 offset:20
	ds_read_b32 v1, v48 offset:20
	;; [unrolled: 1-line block ×3, first 2 shown]
                                        ; implicit-def: $vgpr51
	s_waitcnt lgkmcnt(2)
	v_add_u32_e32 v45, v0, v44
	s_waitcnt lgkmcnt(1)
	v_add3_u32 v13, v47, v46, v1
	ds_read_b32 v0, v54 offset:20
	s_waitcnt lgkmcnt(1)
	v_add3_u32 v3, v50, v49, v2
	ds_read_b32 v1, v57 offset:20
	ds_read_b32 v2, v60 offset:20
	;; [unrolled: 1-line block ×4, first 2 shown]
                                        ; implicit-def: $vgpr54
                                        ; implicit-def: $vgpr50
                                        ; implicit-def: $vgpr49
	s_waitcnt lgkmcnt(3)
	v_add3_u32 v44, v56, v55, v1
	v_add3_u32 v46, v53, v52, v0
	s_waitcnt lgkmcnt(2)
	v_add3_u32 v2, v59, v58, v2
	s_waitcnt lgkmcnt(1)
	;; [unrolled: 2-line block ×3, first 2 shown]
	v_add3_u32 v0, v65, v64, v48
                                        ; implicit-def: $vgpr53
                                        ; implicit-def: $vgpr52
                                        ; implicit-def: $vgpr48
                                        ; implicit-def: $vgpr47
	s_cbranch_vccnz .LBB40_5
; %bb.29:                               ;   in Loop: Header=BB40_6 Depth=2
	v_lshrrev_b32_e32 v47, 3, v45
	v_and_b32_e32 v47, 0x1ffffffc, v47
	v_lshl_add_u32 v47, v45, 2, v47
	s_barrier
	ds_write_b32 v47, v43
	v_lshrrev_b32_e32 v47, 3, v13
	v_and_b32_e32 v47, 0x1ffffffc, v47
	v_lshl_add_u32 v47, v13, 2, v47
	ds_write_b32 v47, v42
	v_lshrrev_b32_e32 v47, 3, v3
	v_and_b32_e32 v47, 0x1ffffffc, v47
	v_lshl_add_u32 v47, v3, 2, v47
	;; [unrolled: 4-line block ×7, first 2 shown]
	ds_write_b32 v47, v4
	s_waitcnt lgkmcnt(0)
	s_barrier
	ds_read_b32 v47, v16
	ds_read_b32 v48, v17 offset:256
	ds_read_b32 v49, v18 offset:512
	;; [unrolled: 1-line block ×7, first 2 shown]
	v_add_u32_e32 v9, 8, v9
	s_mov_b64 s[34:35], 0
	s_waitcnt lgkmcnt(0)
	s_barrier
	s_branch .LBB40_5
.LBB40_30:                              ;   in Loop: Header=BB40_2 Depth=1
	v_lshrrev_b32_e32 v9, 3, v45
	v_and_b32_e32 v9, 0x1ffffffc, v9
	v_lshl_add_u32 v9, v45, 2, v9
	s_barrier
	ds_write_b32 v9, v43
	v_lshrrev_b32_e32 v9, 3, v13
	v_and_b32_e32 v9, 0x1ffffffc, v9
	v_lshl_add_u32 v9, v13, 2, v9
	ds_write_b32 v9, v42
	v_lshrrev_b32_e32 v9, 3, v3
	v_and_b32_e32 v9, 0x1ffffffc, v9
	v_lshl_add_u32 v3, v3, 2, v9
	;; [unrolled: 4-line block ×7, first 2 shown]
	ds_write_b32 v0, v4
	s_waitcnt lgkmcnt(0)
	s_barrier
	ds_read2_b32 v[0:1], v30 offset1:1
	ds_read2_b32 v[7:8], v30 offset0:2 offset1:3
	ds_read2_b32 v[9:10], v30 offset0:4 offset1:5
	ds_read2_b32 v[2:3], v30 offset0:6 offset1:7
	s_waitcnt lgkmcnt(0)
	s_barrier
	s_and_saveexec_b64 s[34:35], s[0:1]
; %bb.31:                               ;   in Loop: Header=BB40_2 Depth=1
	ds_write2st64_b32 v28, v40, v40 offset0:10 offset1:15
; %bb.32:                               ;   in Loop: Header=BB40_2 Depth=1
	s_or_b64 exec, exec, s[34:35]
	v_xor_b32_e32 v6, 0x80000000, v3
	v_xor_b32_e32 v5, 0x80000000, v2
	v_cmp_ne_u32_e32 vcc, v2, v3
	v_mov_b32_e32 v3, v6
	s_waitcnt lgkmcnt(0)
	s_barrier
	ds_write_b32 v28, v6
	s_and_saveexec_b64 s[34:35], vcc
	s_cbranch_execz .LBB40_34
; %bb.33:                               ;   in Loop: Header=BB40_2 Depth=1
	v_lshlrev_b32_e32 v2, 2, v6
	v_lshlrev_b32_e32 v3, 2, v5
	ds_write_b32 v2, v31 offset:2560
	ds_write_b32 v3, v31 offset:3840
	v_mov_b32_e32 v3, v5
.LBB40_34:                              ;   in Loop: Header=BB40_2 Depth=1
	s_or_b64 exec, exec, s[34:35]
	v_xor_b32_e32 v4, 0x80000000, v10
	v_cmp_ne_u32_e32 vcc, v4, v3
	v_lshlrev_b32_e32 v2, 2, v4
	s_and_saveexec_b64 s[34:35], vcc
	s_cbranch_execz .LBB40_36
; %bb.35:                               ;   in Loop: Header=BB40_2 Depth=1
	v_lshlrev_b32_e32 v3, 2, v3
	ds_write_b32 v3, v32 offset:2560
	ds_write_b32 v2, v32 offset:3840
.LBB40_36:                              ;   in Loop: Header=BB40_2 Depth=1
	s_or_b64 exec, exec, s[34:35]
	v_xor_b32_e32 v3, 0x80000000, v9
	v_cmp_ne_u32_e32 vcc, v9, v10
	v_lshlrev_b32_e32 v13, 2, v3
	s_and_saveexec_b64 s[34:35], vcc
	s_cbranch_execz .LBB40_38
; %bb.37:                               ;   in Loop: Header=BB40_2 Depth=1
	ds_write_b32 v2, v33 offset:2560
	ds_write_b32 v13, v33 offset:3840
.LBB40_38:                              ;   in Loop: Header=BB40_2 Depth=1
	s_or_b64 exec, exec, s[34:35]
	v_xor_b32_e32 v10, 0x80000000, v8
	v_cmp_ne_u32_e32 vcc, v8, v9
	v_lshlrev_b32_e32 v2, 2, v10
	s_and_saveexec_b64 s[34:35], vcc
	s_cbranch_execz .LBB40_40
; %bb.39:                               ;   in Loop: Header=BB40_2 Depth=1
	ds_write_b32 v13, v34 offset:2560
	ds_write_b32 v2, v34 offset:3840
.LBB40_40:                              ;   in Loop: Header=BB40_2 Depth=1
	;; [unrolled: 10-line block ×5, first 2 shown]
	s_or_b64 exec, exec, s[34:35]
	s_waitcnt lgkmcnt(0)
	s_barrier
	s_and_saveexec_b64 s[34:35], s[24:25]
	s_cbranch_execz .LBB40_49
; %bb.47:                               ;   in Loop: Header=BB40_2 Depth=1
	ds_read_b32 v1, v38
	s_waitcnt lgkmcnt(0)
	v_cmp_ne_u32_e32 vcc, v1, v7
	s_and_b64 exec, exec, vcc
	s_cbranch_execz .LBB40_49
; %bb.48:                               ;   in Loop: Header=BB40_2 Depth=1
	ds_write_b32 v0, v14 offset:2560
	ds_read_b32 v1, v38
	s_waitcnt lgkmcnt(0)
	v_lshlrev_b32_e32 v1, 2, v1
	ds_write_b32 v1, v14 offset:3840
.LBB40_49:                              ;   in Loop: Header=BB40_2 Depth=1
	s_or_b64 exec, exec, s[34:35]
	s_waitcnt lgkmcnt(0)
	s_barrier
	s_and_saveexec_b64 s[34:35], s[22:23]
; %bb.50:                               ;   in Loop: Header=BB40_2 Depth=1
	ds_write_b32 v0, v12 offset:2560
; %bb.51:                               ;   in Loop: Header=BB40_2 Depth=1
	s_or_b64 exec, exec, s[34:35]
	s_waitcnt lgkmcnt(0)
	s_barrier
	s_and_saveexec_b64 s[34:35], s[0:1]
	s_cbranch_execz .LBB40_1
; %bb.52:                               ;   in Loop: Header=BB40_2 Depth=1
	ds_read2st64_b32 v[0:1], v28 offset0:10 offset1:15
	ds_read_b32 v2, v25
	s_waitcnt lgkmcnt(1)
	v_sub_u32_e32 v0, v1, v0
	s_waitcnt lgkmcnt(0)
	v_add_u32_e32 v0, v0, v2
	ds_write_b32 v25, v0
	s_branch .LBB40_1
.LBB40_53:
	s_and_saveexec_b64 s[2:3], s[0:1]
	s_cbranch_execz .LBB40_55
; %bb.54:
	v_mov_b32_e32 v12, 0
	ds_read_b32 v3, v25
	v_lshlrev_b64 v[0:1], 2, v[11:12]
	v_mov_b32_e32 v2, s39
	v_add_co_u32_e32 v0, vcc, s38, v0
	v_addc_co_u32_e32 v1, vcc, v2, v1, vcc
	s_waitcnt lgkmcnt(0)
	global_store_dword v[0:1], v3, off
.LBB40_55:
	s_endpgm
	.section	.rodata,"a",@progbits
	.p2align	6, 0x0
	.amdhsa_kernel _Z6kernelI9histogramILN6hipcub23BlockHistogramAlgorithmE1EEiLj320ELj8ELj320ELj100EEvPKT0_PS4_
		.amdhsa_group_segment_fixed_size 11840
		.amdhsa_private_segment_fixed_size 0
		.amdhsa_kernarg_size 272
		.amdhsa_user_sgpr_count 6
		.amdhsa_user_sgpr_private_segment_buffer 1
		.amdhsa_user_sgpr_dispatch_ptr 0
		.amdhsa_user_sgpr_queue_ptr 0
		.amdhsa_user_sgpr_kernarg_segment_ptr 1
		.amdhsa_user_sgpr_dispatch_id 0
		.amdhsa_user_sgpr_flat_scratch_init 0
		.amdhsa_user_sgpr_private_segment_size 0
		.amdhsa_uses_dynamic_stack 0
		.amdhsa_system_sgpr_private_segment_wavefront_offset 0
		.amdhsa_system_sgpr_workgroup_id_x 1
		.amdhsa_system_sgpr_workgroup_id_y 0
		.amdhsa_system_sgpr_workgroup_id_z 0
		.amdhsa_system_sgpr_workgroup_info 0
		.amdhsa_system_vgpr_workitem_id 2
		.amdhsa_next_free_vgpr 68
		.amdhsa_next_free_sgpr 77
		.amdhsa_reserve_vcc 1
		.amdhsa_reserve_flat_scratch 0
		.amdhsa_float_round_mode_32 0
		.amdhsa_float_round_mode_16_64 0
		.amdhsa_float_denorm_mode_32 3
		.amdhsa_float_denorm_mode_16_64 3
		.amdhsa_dx10_clamp 1
		.amdhsa_ieee_mode 1
		.amdhsa_fp16_overflow 0
		.amdhsa_exception_fp_ieee_invalid_op 0
		.amdhsa_exception_fp_denorm_src 0
		.amdhsa_exception_fp_ieee_div_zero 0
		.amdhsa_exception_fp_ieee_overflow 0
		.amdhsa_exception_fp_ieee_underflow 0
		.amdhsa_exception_fp_ieee_inexact 0
		.amdhsa_exception_int_div_zero 0
	.end_amdhsa_kernel
	.section	.text._Z6kernelI9histogramILN6hipcub23BlockHistogramAlgorithmE1EEiLj320ELj8ELj320ELj100EEvPKT0_PS4_,"axG",@progbits,_Z6kernelI9histogramILN6hipcub23BlockHistogramAlgorithmE1EEiLj320ELj8ELj320ELj100EEvPKT0_PS4_,comdat
.Lfunc_end40:
	.size	_Z6kernelI9histogramILN6hipcub23BlockHistogramAlgorithmE1EEiLj320ELj8ELj320ELj100EEvPKT0_PS4_, .Lfunc_end40-_Z6kernelI9histogramILN6hipcub23BlockHistogramAlgorithmE1EEiLj320ELj8ELj320ELj100EEvPKT0_PS4_
                                        ; -- End function
	.set _Z6kernelI9histogramILN6hipcub23BlockHistogramAlgorithmE1EEiLj320ELj8ELj320ELj100EEvPKT0_PS4_.num_vgpr, 68
	.set _Z6kernelI9histogramILN6hipcub23BlockHistogramAlgorithmE1EEiLj320ELj8ELj320ELj100EEvPKT0_PS4_.num_agpr, 0
	.set _Z6kernelI9histogramILN6hipcub23BlockHistogramAlgorithmE1EEiLj320ELj8ELj320ELj100EEvPKT0_PS4_.numbered_sgpr, 40
	.set _Z6kernelI9histogramILN6hipcub23BlockHistogramAlgorithmE1EEiLj320ELj8ELj320ELj100EEvPKT0_PS4_.num_named_barrier, 0
	.set _Z6kernelI9histogramILN6hipcub23BlockHistogramAlgorithmE1EEiLj320ELj8ELj320ELj100EEvPKT0_PS4_.private_seg_size, 0
	.set _Z6kernelI9histogramILN6hipcub23BlockHistogramAlgorithmE1EEiLj320ELj8ELj320ELj100EEvPKT0_PS4_.uses_vcc, 1
	.set _Z6kernelI9histogramILN6hipcub23BlockHistogramAlgorithmE1EEiLj320ELj8ELj320ELj100EEvPKT0_PS4_.uses_flat_scratch, 0
	.set _Z6kernelI9histogramILN6hipcub23BlockHistogramAlgorithmE1EEiLj320ELj8ELj320ELj100EEvPKT0_PS4_.has_dyn_sized_stack, 0
	.set _Z6kernelI9histogramILN6hipcub23BlockHistogramAlgorithmE1EEiLj320ELj8ELj320ELj100EEvPKT0_PS4_.has_recursion, 0
	.set _Z6kernelI9histogramILN6hipcub23BlockHistogramAlgorithmE1EEiLj320ELj8ELj320ELj100EEvPKT0_PS4_.has_indirect_call, 0
	.section	.AMDGPU.csdata,"",@progbits
; Kernel info:
; codeLenInByte = 5632
; TotalNumSgprs: 44
; NumVgprs: 68
; ScratchSize: 0
; MemoryBound: 0
; FloatMode: 240
; IeeeMode: 1
; LDSByteSize: 11840 bytes/workgroup (compile time only)
; SGPRBlocks: 10
; VGPRBlocks: 16
; NumSGPRsForWavesPerEU: 81
; NumVGPRsForWavesPerEU: 68
; Occupancy: 3
; WaveLimiterHint : 0
; COMPUTE_PGM_RSRC2:SCRATCH_EN: 0
; COMPUTE_PGM_RSRC2:USER_SGPR: 6
; COMPUTE_PGM_RSRC2:TRAP_HANDLER: 0
; COMPUTE_PGM_RSRC2:TGID_X_EN: 1
; COMPUTE_PGM_RSRC2:TGID_Y_EN: 0
; COMPUTE_PGM_RSRC2:TGID_Z_EN: 0
; COMPUTE_PGM_RSRC2:TIDIG_COMP_CNT: 2
	.section	.text._Z6kernelI9histogramILN6hipcub23BlockHistogramAlgorithmE1EEiLj320ELj16ELj320ELj100EEvPKT0_PS4_,"axG",@progbits,_Z6kernelI9histogramILN6hipcub23BlockHistogramAlgorithmE1EEiLj320ELj16ELj320ELj100EEvPKT0_PS4_,comdat
	.protected	_Z6kernelI9histogramILN6hipcub23BlockHistogramAlgorithmE1EEiLj320ELj16ELj320ELj100EEvPKT0_PS4_ ; -- Begin function _Z6kernelI9histogramILN6hipcub23BlockHistogramAlgorithmE1EEiLj320ELj16ELj320ELj100EEvPKT0_PS4_
	.globl	_Z6kernelI9histogramILN6hipcub23BlockHistogramAlgorithmE1EEiLj320ELj16ELj320ELj100EEvPKT0_PS4_
	.p2align	8
	.type	_Z6kernelI9histogramILN6hipcub23BlockHistogramAlgorithmE1EEiLj320ELj16ELj320ELj100EEvPKT0_PS4_,@function
_Z6kernelI9histogramILN6hipcub23BlockHistogramAlgorithmE1EEiLj320ELj16ELj320ELj100EEvPKT0_PS4_: ; @_Z6kernelI9histogramILN6hipcub23BlockHistogramAlgorithmE1EEiLj320ELj16ELj320ELj100EEvPKT0_PS4_
; %bb.0:
	s_mulk_i32 s6, 0x140
	s_load_dwordx4 s[36:39], s[4:5], 0x0
	s_load_dword s2, s[4:5], 0x1c
	v_add_u32_e32 v3, s6, v0
	v_mov_b32_e32 v4, 0
	v_lshlrev_b32_e32 v5, 4, v3
	v_mov_b32_e32 v6, v4
	v_lshlrev_b64 v[5:6], 2, v[5:6]
	s_waitcnt lgkmcnt(0)
	v_mov_b32_e32 v7, s37
	v_add_co_u32_e32 v5, vcc, s36, v5
	v_addc_co_u32_e32 v6, vcc, v7, v6, vcc
	global_load_dwordx4 v[15:18], v[5:6], off offset:48
	global_load_dwordx4 v[11:14], v[5:6], off offset:32
	;; [unrolled: 1-line block ×3, first 2 shown]
	global_load_dwordx4 v[58:61], v[5:6], off
	v_mbcnt_lo_u32_b32 v5, -1, 0
	v_mbcnt_hi_u32_b32 v5, -1, v5
	v_lshlrev_b32_e32 v19, 4, v0
	s_movk_i32 s3, 0x1c00
	v_and_or_b32 v36, v19, s3, v5
	s_lshr_b32 s3, s2, 16
	s_and_b32 s2, s2, 0xffff
	v_mad_u32_u24 v1, v2, s3, v1
	v_and_b32_e32 v6, 0x1c0, v0
	v_mad_u64_u32 v[62:63], s[2:3], v1, s2, v[0:1]
	v_and_b32_e32 v1, 15, v5
	v_add_u32_e32 v20, v5, v6
	v_cmp_eq_u32_e64 s[2:3], 0, v1
	v_cmp_lt_u32_e64 s[4:5], 1, v1
	v_cmp_lt_u32_e64 s[6:7], 3, v1
	v_cmp_lt_u32_e64 s[8:9], 7, v1
	v_and_b32_e32 v1, 16, v5
	v_lshlrev_b32_e32 v21, 1, v20
	v_cmp_eq_u32_e64 s[10:11], 0, v1
	v_min_u32_e32 v1, 0x100, v6
	v_and_b32_e32 v21, 0x7fc, v21
	v_or_b32_e32 v1, 63, v1
	v_lshl_add_u32 v20, v20, 6, v21
	v_lshrrev_b32_e32 v21, 3, v36
	v_lshlrev_b32_e32 v37, 2, v36
	v_add_u32_e32 v22, 64, v36
	v_or_b32_e32 v23, 0x80, v36
	v_add_u32_e32 v24, 0xc0, v36
	v_or_b32_e32 v25, 0x100, v36
	;; [unrolled: 2-line block ×7, first 2 shown]
	v_add_u32_e32 v36, 0x3c0, v36
	v_cmp_eq_u32_e64 s[14:15], v0, v1
	v_subrev_co_u32_e64 v1, s[20:21], 1, v5
	v_and_b32_e32 v2, 64, v5
	v_lshrrev_b32_e32 v22, 3, v22
	v_lshrrev_b32_e32 v23, 3, v23
	;; [unrolled: 1-line block ×15, first 2 shown]
	v_cmp_lt_i32_e32 vcc, v1, v2
	v_and_b32_e32 v21, 0x38c, v21
	v_and_b32_e32 v22, 0x39c, v22
	;; [unrolled: 1-line block ×16, first 2 shown]
	v_cndmask_b32_e32 v1, v1, v5, vcc
	v_add_u32_e32 v21, v21, v37
	v_add_u32_e32 v22, v22, v37
	;; [unrolled: 1-line block ×16, first 2 shown]
	v_lshlrev_b32_e32 v37, 2, v1
	v_lshrrev_b32_e32 v1, 4, v0
	v_and_b32_e32 v38, 28, v1
	v_and_b32_e32 v1, 7, v5
	v_cmp_eq_u32_e64 s[26:27], 0, v1
	v_cmp_lt_u32_e64 s[28:29], 1, v1
	v_cmp_lt_u32_e64 s[30:31], 3, v1
	v_lshlrev_b32_e32 v1, 1, v0
	v_and_b32_e32 v1, 0x3fc, v1
	s_movk_i32 s0, 0x140
	v_lshl_add_u32 v41, v0, 6, v1
	v_mov_b32_e32 v1, 0x5280
	v_cmp_gt_u32_e64 s[0:1], s0, v0
	v_cmp_gt_u32_e64 s[16:17], 5, v0
	v_cmp_lt_u32_e64 s[18:19], 63, v0
	v_cmp_eq_u32_e64 s[22:23], 0, v0
	v_cmp_ne_u32_e64 s[24:25], 0, v0
	v_mad_i32_i24 v39, v0, -12, v19
	v_lshl_add_u32 v2, v0, 2, v1
	s_waitcnt vmcnt(0)
	v_xor_b32_e32 v0, 0x80000000, v58
	v_lshrrev_b32_e32 v58, 4, v62
	s_mov_b32 s33, 0
	v_cmp_lt_u32_e64 s[12:13], 31, v5
	v_add_u32_e32 v40, -4, v38
	v_or_b32_e32 v42, 15, v19
	v_or_b32_e32 v43, 14, v19
	;; [unrolled: 1-line block ×15, first 2 shown]
	v_add_u32_e32 v57, -4, v39
	v_xor_b32_e32 v1, 0x80000000, v59
	v_xor_b32_e32 v5, 0x80000000, v60
	;; [unrolled: 1-line block ×15, first 2 shown]
	v_and_b32_e32 v58, 0xffffffc, v58
	v_mov_b32_e32 v59, 0x1400
	v_mov_b32_e32 v60, 20
	s_branch .LBB41_2
.LBB41_1:                               ;   in Loop: Header=BB41_2 Depth=1
	s_or_b64 exec, exec, s[34:35]
	s_add_i32 s33, s33, 1
	s_cmpk_lg_i32 s33, 0x64
	s_cbranch_scc0 .LBB41_85
.LBB41_2:                               ; =>This Loop Header: Depth=1
                                        ;     Child Loop BB41_6 Depth 2
	s_and_saveexec_b64 s[34:35], s[0:1]
; %bb.3:                                ;   in Loop: Header=BB41_2 Depth=1
	ds_write_b32 v2, v4
; %bb.4:                                ;   in Loop: Header=BB41_2 Depth=1
	s_or_b64 exec, exec, s[34:35]
	s_waitcnt lgkmcnt(0)
	s_barrier
	ds_write2_b32 v20, v0, v1 offset1:1
	ds_write2_b32 v20, v5, v6 offset0:2 offset1:3
	ds_write2_b32 v20, v7, v8 offset0:4 offset1:5
	;; [unrolled: 1-line block ×7, first 2 shown]
	; wave barrier
	ds_read_b32 v74, v21
	ds_read_b32 v76, v22 offset:256
	ds_read_b32 v77, v23 offset:512
	;; [unrolled: 1-line block ×15, first 2 shown]
	s_mov_b32 s36, 0
	s_waitcnt lgkmcnt(0)
	s_barrier
	; wave barrier
	s_barrier
	s_branch .LBB41_6
.LBB41_5:                               ;   in Loop: Header=BB41_6 Depth=2
	v_lshrrev_b32_e32 v74, 3, v110
	v_and_b32_e32 v74, 0x1ffffffc, v74
	v_lshl_add_u32 v74, v110, 2, v74
	s_barrier
	ds_write_b32 v74, v64
	v_lshrrev_b32_e32 v74, 3, v78
	v_and_b32_e32 v74, 0x1ffffffc, v74
	v_lshl_add_u32 v74, v78, 2, v74
	ds_write_b32 v74, v63
	v_lshrrev_b32_e32 v74, 3, v75
	v_and_b32_e32 v74, 0x1ffffffc, v74
	v_lshl_add_u32 v74, v75, 2, v74
	;; [unrolled: 4-line block ×15, first 2 shown]
	ds_write_b32 v74, v7
	s_waitcnt lgkmcnt(0)
	s_barrier
	ds_read_b32 v74, v21
	ds_read_b32 v76, v22 offset:256
	ds_read_b32 v77, v23 offset:512
	;; [unrolled: 1-line block ×15, first 2 shown]
	s_add_i32 s36, s36, 8
	s_waitcnt lgkmcnt(0)
	s_barrier
	s_cbranch_execz .LBB41_46
.LBB41_6:                               ;   Parent Loop BB41_2 Depth=1
                                        ; =>  This Inner Loop Header: Depth=2
	v_mov_b32_e32 v64, v74
	v_lshrrev_b32_e32 v0, s36, v64
	v_and_b32_e32 v1, 1, v0
	v_add_co_u32_e32 v5, vcc, -1, v1
	v_addc_co_u32_e64 v65, s[34:35], 0, -1, vcc
	v_cmp_ne_u32_e32 vcc, 0, v1
	v_xor_b32_e32 v5, vcc_lo, v5
	v_xor_b32_e32 v1, vcc_hi, v65
	v_and_b32_e32 v65, exec_lo, v5
	v_lshlrev_b32_e32 v5, 30, v0
	v_cmp_gt_i64_e32 vcc, 0, v[4:5]
	v_not_b32_e32 v5, v5
	v_ashrrev_i32_e32 v5, 31, v5
	v_xor_b32_e32 v66, vcc_hi, v5
	v_xor_b32_e32 v5, vcc_lo, v5
	v_and_b32_e32 v65, v65, v5
	v_lshlrev_b32_e32 v5, 29, v0
	v_cmp_gt_i64_e32 vcc, 0, v[4:5]
	v_not_b32_e32 v5, v5
	v_and_b32_e32 v1, exec_hi, v1
	v_ashrrev_i32_e32 v5, 31, v5
	v_and_b32_e32 v1, v1, v66
	v_xor_b32_e32 v66, vcc_hi, v5
	v_xor_b32_e32 v5, vcc_lo, v5
	v_and_b32_e32 v65, v65, v5
	v_lshlrev_b32_e32 v5, 28, v0
	v_cmp_gt_i64_e32 vcc, 0, v[4:5]
	v_not_b32_e32 v5, v5
	v_ashrrev_i32_e32 v5, 31, v5
	v_and_b32_e32 v1, v1, v66
	v_xor_b32_e32 v66, vcc_hi, v5
	v_xor_b32_e32 v5, vcc_lo, v5
	v_and_b32_e32 v65, v65, v5
	v_lshlrev_b32_e32 v5, 27, v0
	v_cmp_gt_i64_e32 vcc, 0, v[4:5]
	v_not_b32_e32 v5, v5
	;; [unrolled: 8-line block ×4, first 2 shown]
	v_ashrrev_i32_e32 v5, 31, v5
	v_and_b32_e32 v1, v1, v66
	v_xor_b32_e32 v66, vcc_hi, v5
	v_xor_b32_e32 v5, vcc_lo, v5
	v_and_b32_e32 v65, v65, v5
	v_lshlrev_b32_e32 v5, 24, v0
	v_mul_u32_u24_sdwa v6, v0, v60 dst_sel:DWORD dst_unused:UNUSED_PAD src0_sel:BYTE_0 src1_sel:DWORD
	v_cmp_gt_i64_e32 vcc, 0, v[4:5]
	v_not_b32_e32 v0, v5
	v_ashrrev_i32_e32 v0, 31, v0
	v_xor_b32_e32 v5, vcc_hi, v0
	v_xor_b32_e32 v0, vcc_lo, v0
	v_and_b32_e32 v1, v1, v66
	v_and_b32_e32 v0, v65, v0
	;; [unrolled: 1-line block ×3, first 2 shown]
	v_mbcnt_lo_u32_b32 v5, v0, 0
	v_mbcnt_hi_u32_b32 v65, v1, v5
	v_cmp_ne_u64_e32 vcc, 0, v[0:1]
	v_cmp_eq_u32_e64 s[34:35], 0, v65
	v_mov_b32_e32 v63, v76
	v_mov_b32_e32 v62, v77
	;; [unrolled: 1-line block ×15, first 2 shown]
	s_and_b64 s[40:41], vcc, s[34:35]
	v_add_u32_e32 v66, v58, v6
	ds_write2_b32 v19, v4, v4 offset0:5 offset1:6
	ds_write2_b32 v19, v4, v4 offset0:7 offset1:8
	s_waitcnt lgkmcnt(0)
	s_barrier
	; wave barrier
	s_and_saveexec_b64 s[34:35], s[40:41]
; %bb.7:                                ;   in Loop: Header=BB41_6 Depth=2
	v_bcnt_u32_b32 v0, v0, 0
	v_bcnt_u32_b32 v0, v1, v0
	ds_write_b32 v66, v0 offset:20
; %bb.8:                                ;   in Loop: Header=BB41_6 Depth=2
	s_or_b64 exec, exec, s[34:35]
	v_lshrrev_b32_e32 v0, s36, v63
	v_and_b32_e32 v1, 0xff, v0
	v_mul_u32_u24_e32 v6, 20, v1
	v_mad_u32_u24 v1, v1, 20, v58
	; wave barrier
	ds_read_b32 v67, v1 offset:20
	v_and_b32_e32 v1, 1, v0
	v_add_co_u32_e32 v5, vcc, -1, v1
	v_addc_co_u32_e64 v68, s[34:35], 0, -1, vcc
	v_cmp_ne_u32_e32 vcc, 0, v1
	v_xor_b32_e32 v5, vcc_lo, v5
	v_xor_b32_e32 v1, vcc_hi, v68
	v_and_b32_e32 v68, exec_lo, v5
	v_lshlrev_b32_e32 v5, 30, v0
	v_cmp_gt_i64_e32 vcc, 0, v[4:5]
	v_not_b32_e32 v5, v5
	v_ashrrev_i32_e32 v5, 31, v5
	v_xor_b32_e32 v69, vcc_hi, v5
	v_xor_b32_e32 v5, vcc_lo, v5
	v_and_b32_e32 v68, v68, v5
	v_lshlrev_b32_e32 v5, 29, v0
	v_cmp_gt_i64_e32 vcc, 0, v[4:5]
	v_not_b32_e32 v5, v5
	v_and_b32_e32 v1, exec_hi, v1
	v_ashrrev_i32_e32 v5, 31, v5
	v_and_b32_e32 v1, v1, v69
	v_xor_b32_e32 v69, vcc_hi, v5
	v_xor_b32_e32 v5, vcc_lo, v5
	v_and_b32_e32 v68, v68, v5
	v_lshlrev_b32_e32 v5, 28, v0
	v_cmp_gt_i64_e32 vcc, 0, v[4:5]
	v_not_b32_e32 v5, v5
	v_ashrrev_i32_e32 v5, 31, v5
	v_and_b32_e32 v1, v1, v69
	v_xor_b32_e32 v69, vcc_hi, v5
	v_xor_b32_e32 v5, vcc_lo, v5
	v_and_b32_e32 v68, v68, v5
	v_lshlrev_b32_e32 v5, 27, v0
	v_cmp_gt_i64_e32 vcc, 0, v[4:5]
	v_not_b32_e32 v5, v5
	;; [unrolled: 8-line block ×5, first 2 shown]
	v_ashrrev_i32_e32 v0, 31, v0
	v_xor_b32_e32 v5, vcc_hi, v0
	v_xor_b32_e32 v0, vcc_lo, v0
	v_and_b32_e32 v1, v1, v69
	v_and_b32_e32 v0, v68, v0
	;; [unrolled: 1-line block ×3, first 2 shown]
	v_mbcnt_lo_u32_b32 v5, v0, 0
	v_mbcnt_hi_u32_b32 v68, v1, v5
	v_cmp_ne_u64_e32 vcc, 0, v[0:1]
	v_cmp_eq_u32_e64 s[34:35], 0, v68
	s_and_b64 s[40:41], vcc, s[34:35]
	v_add_u32_e32 v69, v58, v6
	; wave barrier
	s_and_saveexec_b64 s[34:35], s[40:41]
	s_cbranch_execz .LBB41_10
; %bb.9:                                ;   in Loop: Header=BB41_6 Depth=2
	v_bcnt_u32_b32 v0, v0, 0
	v_bcnt_u32_b32 v0, v1, v0
	s_waitcnt lgkmcnt(0)
	v_add_u32_e32 v0, v67, v0
	ds_write_b32 v69, v0 offset:20
.LBB41_10:                              ;   in Loop: Header=BB41_6 Depth=2
	s_or_b64 exec, exec, s[34:35]
	v_lshrrev_b32_e32 v0, s36, v62
	v_and_b32_e32 v1, 0xff, v0
	v_mul_u32_u24_e32 v6, 20, v1
	v_mad_u32_u24 v1, v1, 20, v58
	; wave barrier
	ds_read_b32 v70, v1 offset:20
	v_and_b32_e32 v1, 1, v0
	v_add_co_u32_e32 v5, vcc, -1, v1
	v_addc_co_u32_e64 v71, s[34:35], 0, -1, vcc
	v_cmp_ne_u32_e32 vcc, 0, v1
	v_xor_b32_e32 v5, vcc_lo, v5
	v_xor_b32_e32 v1, vcc_hi, v71
	v_and_b32_e32 v71, exec_lo, v5
	v_lshlrev_b32_e32 v5, 30, v0
	v_cmp_gt_i64_e32 vcc, 0, v[4:5]
	v_not_b32_e32 v5, v5
	v_ashrrev_i32_e32 v5, 31, v5
	v_xor_b32_e32 v72, vcc_hi, v5
	v_xor_b32_e32 v5, vcc_lo, v5
	v_and_b32_e32 v71, v71, v5
	v_lshlrev_b32_e32 v5, 29, v0
	v_cmp_gt_i64_e32 vcc, 0, v[4:5]
	v_not_b32_e32 v5, v5
	v_and_b32_e32 v1, exec_hi, v1
	v_ashrrev_i32_e32 v5, 31, v5
	v_and_b32_e32 v1, v1, v72
	v_xor_b32_e32 v72, vcc_hi, v5
	v_xor_b32_e32 v5, vcc_lo, v5
	v_and_b32_e32 v71, v71, v5
	v_lshlrev_b32_e32 v5, 28, v0
	v_cmp_gt_i64_e32 vcc, 0, v[4:5]
	v_not_b32_e32 v5, v5
	v_ashrrev_i32_e32 v5, 31, v5
	v_and_b32_e32 v1, v1, v72
	v_xor_b32_e32 v72, vcc_hi, v5
	v_xor_b32_e32 v5, vcc_lo, v5
	v_and_b32_e32 v71, v71, v5
	v_lshlrev_b32_e32 v5, 27, v0
	v_cmp_gt_i64_e32 vcc, 0, v[4:5]
	v_not_b32_e32 v5, v5
	;; [unrolled: 8-line block ×5, first 2 shown]
	v_ashrrev_i32_e32 v0, 31, v0
	v_xor_b32_e32 v5, vcc_hi, v0
	v_xor_b32_e32 v0, vcc_lo, v0
	v_and_b32_e32 v1, v1, v72
	v_and_b32_e32 v0, v71, v0
	;; [unrolled: 1-line block ×3, first 2 shown]
	v_mbcnt_lo_u32_b32 v5, v0, 0
	v_mbcnt_hi_u32_b32 v71, v1, v5
	v_cmp_ne_u64_e32 vcc, 0, v[0:1]
	v_cmp_eq_u32_e64 s[34:35], 0, v71
	s_and_b64 s[40:41], vcc, s[34:35]
	v_add_u32_e32 v72, v58, v6
	; wave barrier
	s_and_saveexec_b64 s[34:35], s[40:41]
	s_cbranch_execz .LBB41_12
; %bb.11:                               ;   in Loop: Header=BB41_6 Depth=2
	v_bcnt_u32_b32 v0, v0, 0
	v_bcnt_u32_b32 v0, v1, v0
	s_waitcnt lgkmcnt(0)
	v_add_u32_e32 v0, v70, v0
	ds_write_b32 v72, v0 offset:20
.LBB41_12:                              ;   in Loop: Header=BB41_6 Depth=2
	s_or_b64 exec, exec, s[34:35]
	v_lshrrev_b32_e32 v0, s36, v61
	v_and_b32_e32 v1, 0xff, v0
	v_mul_u32_u24_e32 v6, 20, v1
	v_mad_u32_u24 v1, v1, 20, v58
	; wave barrier
	ds_read_b32 v73, v1 offset:20
	v_and_b32_e32 v1, 1, v0
	v_add_co_u32_e32 v5, vcc, -1, v1
	v_addc_co_u32_e64 v74, s[34:35], 0, -1, vcc
	v_cmp_ne_u32_e32 vcc, 0, v1
	v_xor_b32_e32 v5, vcc_lo, v5
	v_xor_b32_e32 v1, vcc_hi, v74
	v_and_b32_e32 v74, exec_lo, v5
	v_lshlrev_b32_e32 v5, 30, v0
	v_cmp_gt_i64_e32 vcc, 0, v[4:5]
	v_not_b32_e32 v5, v5
	v_ashrrev_i32_e32 v5, 31, v5
	v_xor_b32_e32 v75, vcc_hi, v5
	v_xor_b32_e32 v5, vcc_lo, v5
	v_and_b32_e32 v74, v74, v5
	v_lshlrev_b32_e32 v5, 29, v0
	v_cmp_gt_i64_e32 vcc, 0, v[4:5]
	v_not_b32_e32 v5, v5
	v_and_b32_e32 v1, exec_hi, v1
	v_ashrrev_i32_e32 v5, 31, v5
	v_and_b32_e32 v1, v1, v75
	v_xor_b32_e32 v75, vcc_hi, v5
	v_xor_b32_e32 v5, vcc_lo, v5
	v_and_b32_e32 v74, v74, v5
	v_lshlrev_b32_e32 v5, 28, v0
	v_cmp_gt_i64_e32 vcc, 0, v[4:5]
	v_not_b32_e32 v5, v5
	v_ashrrev_i32_e32 v5, 31, v5
	v_and_b32_e32 v1, v1, v75
	v_xor_b32_e32 v75, vcc_hi, v5
	v_xor_b32_e32 v5, vcc_lo, v5
	v_and_b32_e32 v74, v74, v5
	v_lshlrev_b32_e32 v5, 27, v0
	v_cmp_gt_i64_e32 vcc, 0, v[4:5]
	v_not_b32_e32 v5, v5
	;; [unrolled: 8-line block ×5, first 2 shown]
	v_ashrrev_i32_e32 v0, 31, v0
	v_xor_b32_e32 v5, vcc_hi, v0
	v_xor_b32_e32 v0, vcc_lo, v0
	v_and_b32_e32 v1, v1, v75
	v_and_b32_e32 v0, v74, v0
	;; [unrolled: 1-line block ×3, first 2 shown]
	v_mbcnt_lo_u32_b32 v5, v0, 0
	v_mbcnt_hi_u32_b32 v74, v1, v5
	v_cmp_ne_u64_e32 vcc, 0, v[0:1]
	v_cmp_eq_u32_e64 s[34:35], 0, v74
	s_and_b64 s[40:41], vcc, s[34:35]
	v_add_u32_e32 v75, v58, v6
	; wave barrier
	s_and_saveexec_b64 s[34:35], s[40:41]
	s_cbranch_execz .LBB41_14
; %bb.13:                               ;   in Loop: Header=BB41_6 Depth=2
	v_bcnt_u32_b32 v0, v0, 0
	v_bcnt_u32_b32 v0, v1, v0
	s_waitcnt lgkmcnt(0)
	v_add_u32_e32 v0, v73, v0
	ds_write_b32 v75, v0 offset:20
.LBB41_14:                              ;   in Loop: Header=BB41_6 Depth=2
	s_or_b64 exec, exec, s[34:35]
	v_lshrrev_b32_e32 v0, s36, v18
	v_and_b32_e32 v1, 0xff, v0
	v_mul_u32_u24_e32 v6, 20, v1
	v_mad_u32_u24 v1, v1, 20, v58
	; wave barrier
	ds_read_b32 v76, v1 offset:20
	v_and_b32_e32 v1, 1, v0
	v_add_co_u32_e32 v5, vcc, -1, v1
	v_addc_co_u32_e64 v77, s[34:35], 0, -1, vcc
	v_cmp_ne_u32_e32 vcc, 0, v1
	v_xor_b32_e32 v5, vcc_lo, v5
	v_xor_b32_e32 v1, vcc_hi, v77
	v_and_b32_e32 v77, exec_lo, v5
	v_lshlrev_b32_e32 v5, 30, v0
	v_cmp_gt_i64_e32 vcc, 0, v[4:5]
	v_not_b32_e32 v5, v5
	v_ashrrev_i32_e32 v5, 31, v5
	v_xor_b32_e32 v78, vcc_hi, v5
	v_xor_b32_e32 v5, vcc_lo, v5
	v_and_b32_e32 v77, v77, v5
	v_lshlrev_b32_e32 v5, 29, v0
	v_cmp_gt_i64_e32 vcc, 0, v[4:5]
	v_not_b32_e32 v5, v5
	v_and_b32_e32 v1, exec_hi, v1
	v_ashrrev_i32_e32 v5, 31, v5
	v_and_b32_e32 v1, v1, v78
	v_xor_b32_e32 v78, vcc_hi, v5
	v_xor_b32_e32 v5, vcc_lo, v5
	v_and_b32_e32 v77, v77, v5
	v_lshlrev_b32_e32 v5, 28, v0
	v_cmp_gt_i64_e32 vcc, 0, v[4:5]
	v_not_b32_e32 v5, v5
	v_ashrrev_i32_e32 v5, 31, v5
	v_and_b32_e32 v1, v1, v78
	v_xor_b32_e32 v78, vcc_hi, v5
	v_xor_b32_e32 v5, vcc_lo, v5
	v_and_b32_e32 v77, v77, v5
	v_lshlrev_b32_e32 v5, 27, v0
	v_cmp_gt_i64_e32 vcc, 0, v[4:5]
	v_not_b32_e32 v5, v5
	;; [unrolled: 8-line block ×5, first 2 shown]
	v_ashrrev_i32_e32 v0, 31, v0
	v_xor_b32_e32 v5, vcc_hi, v0
	v_xor_b32_e32 v0, vcc_lo, v0
	v_and_b32_e32 v1, v1, v78
	v_and_b32_e32 v0, v77, v0
	;; [unrolled: 1-line block ×3, first 2 shown]
	v_mbcnt_lo_u32_b32 v5, v0, 0
	v_mbcnt_hi_u32_b32 v77, v1, v5
	v_cmp_ne_u64_e32 vcc, 0, v[0:1]
	v_cmp_eq_u32_e64 s[34:35], 0, v77
	s_and_b64 s[40:41], vcc, s[34:35]
	v_add_u32_e32 v78, v58, v6
	; wave barrier
	s_and_saveexec_b64 s[34:35], s[40:41]
	s_cbranch_execz .LBB41_16
; %bb.15:                               ;   in Loop: Header=BB41_6 Depth=2
	v_bcnt_u32_b32 v0, v0, 0
	v_bcnt_u32_b32 v0, v1, v0
	s_waitcnt lgkmcnt(0)
	v_add_u32_e32 v0, v76, v0
	ds_write_b32 v78, v0 offset:20
.LBB41_16:                              ;   in Loop: Header=BB41_6 Depth=2
	s_or_b64 exec, exec, s[34:35]
	v_lshrrev_b32_e32 v0, s36, v17
	v_and_b32_e32 v1, 0xff, v0
	v_mul_u32_u24_e32 v6, 20, v1
	v_mad_u32_u24 v1, v1, 20, v58
	; wave barrier
	ds_read_b32 v79, v1 offset:20
	v_and_b32_e32 v1, 1, v0
	v_add_co_u32_e32 v5, vcc, -1, v1
	v_addc_co_u32_e64 v80, s[34:35], 0, -1, vcc
	v_cmp_ne_u32_e32 vcc, 0, v1
	v_xor_b32_e32 v5, vcc_lo, v5
	v_xor_b32_e32 v1, vcc_hi, v80
	v_and_b32_e32 v80, exec_lo, v5
	v_lshlrev_b32_e32 v5, 30, v0
	v_cmp_gt_i64_e32 vcc, 0, v[4:5]
	v_not_b32_e32 v5, v5
	v_ashrrev_i32_e32 v5, 31, v5
	v_xor_b32_e32 v81, vcc_hi, v5
	v_xor_b32_e32 v5, vcc_lo, v5
	v_and_b32_e32 v80, v80, v5
	v_lshlrev_b32_e32 v5, 29, v0
	v_cmp_gt_i64_e32 vcc, 0, v[4:5]
	v_not_b32_e32 v5, v5
	v_and_b32_e32 v1, exec_hi, v1
	v_ashrrev_i32_e32 v5, 31, v5
	v_and_b32_e32 v1, v1, v81
	v_xor_b32_e32 v81, vcc_hi, v5
	v_xor_b32_e32 v5, vcc_lo, v5
	v_and_b32_e32 v80, v80, v5
	v_lshlrev_b32_e32 v5, 28, v0
	v_cmp_gt_i64_e32 vcc, 0, v[4:5]
	v_not_b32_e32 v5, v5
	v_ashrrev_i32_e32 v5, 31, v5
	v_and_b32_e32 v1, v1, v81
	v_xor_b32_e32 v81, vcc_hi, v5
	v_xor_b32_e32 v5, vcc_lo, v5
	v_and_b32_e32 v80, v80, v5
	v_lshlrev_b32_e32 v5, 27, v0
	v_cmp_gt_i64_e32 vcc, 0, v[4:5]
	v_not_b32_e32 v5, v5
	;; [unrolled: 8-line block ×5, first 2 shown]
	v_ashrrev_i32_e32 v0, 31, v0
	v_xor_b32_e32 v5, vcc_hi, v0
	v_xor_b32_e32 v0, vcc_lo, v0
	v_and_b32_e32 v1, v1, v81
	v_and_b32_e32 v0, v80, v0
	;; [unrolled: 1-line block ×3, first 2 shown]
	v_mbcnt_lo_u32_b32 v5, v0, 0
	v_mbcnt_hi_u32_b32 v80, v1, v5
	v_cmp_ne_u64_e32 vcc, 0, v[0:1]
	v_cmp_eq_u32_e64 s[34:35], 0, v80
	s_and_b64 s[40:41], vcc, s[34:35]
	v_add_u32_e32 v81, v58, v6
	; wave barrier
	s_and_saveexec_b64 s[34:35], s[40:41]
	s_cbranch_execz .LBB41_18
; %bb.17:                               ;   in Loop: Header=BB41_6 Depth=2
	v_bcnt_u32_b32 v0, v0, 0
	v_bcnt_u32_b32 v0, v1, v0
	s_waitcnt lgkmcnt(0)
	v_add_u32_e32 v0, v79, v0
	ds_write_b32 v81, v0 offset:20
.LBB41_18:                              ;   in Loop: Header=BB41_6 Depth=2
	s_or_b64 exec, exec, s[34:35]
	v_lshrrev_b32_e32 v0, s36, v16
	v_and_b32_e32 v1, 0xff, v0
	v_mul_u32_u24_e32 v6, 20, v1
	v_mad_u32_u24 v1, v1, 20, v58
	; wave barrier
	ds_read_b32 v82, v1 offset:20
	v_and_b32_e32 v1, 1, v0
	v_add_co_u32_e32 v5, vcc, -1, v1
	v_addc_co_u32_e64 v83, s[34:35], 0, -1, vcc
	v_cmp_ne_u32_e32 vcc, 0, v1
	v_xor_b32_e32 v5, vcc_lo, v5
	v_xor_b32_e32 v1, vcc_hi, v83
	v_and_b32_e32 v83, exec_lo, v5
	v_lshlrev_b32_e32 v5, 30, v0
	v_cmp_gt_i64_e32 vcc, 0, v[4:5]
	v_not_b32_e32 v5, v5
	v_ashrrev_i32_e32 v5, 31, v5
	v_xor_b32_e32 v84, vcc_hi, v5
	v_xor_b32_e32 v5, vcc_lo, v5
	v_and_b32_e32 v83, v83, v5
	v_lshlrev_b32_e32 v5, 29, v0
	v_cmp_gt_i64_e32 vcc, 0, v[4:5]
	v_not_b32_e32 v5, v5
	v_and_b32_e32 v1, exec_hi, v1
	v_ashrrev_i32_e32 v5, 31, v5
	v_and_b32_e32 v1, v1, v84
	v_xor_b32_e32 v84, vcc_hi, v5
	v_xor_b32_e32 v5, vcc_lo, v5
	v_and_b32_e32 v83, v83, v5
	v_lshlrev_b32_e32 v5, 28, v0
	v_cmp_gt_i64_e32 vcc, 0, v[4:5]
	v_not_b32_e32 v5, v5
	v_ashrrev_i32_e32 v5, 31, v5
	v_and_b32_e32 v1, v1, v84
	v_xor_b32_e32 v84, vcc_hi, v5
	v_xor_b32_e32 v5, vcc_lo, v5
	v_and_b32_e32 v83, v83, v5
	v_lshlrev_b32_e32 v5, 27, v0
	v_cmp_gt_i64_e32 vcc, 0, v[4:5]
	v_not_b32_e32 v5, v5
	;; [unrolled: 8-line block ×5, first 2 shown]
	v_ashrrev_i32_e32 v0, 31, v0
	v_xor_b32_e32 v5, vcc_hi, v0
	v_xor_b32_e32 v0, vcc_lo, v0
	v_and_b32_e32 v1, v1, v84
	v_and_b32_e32 v0, v83, v0
	;; [unrolled: 1-line block ×3, first 2 shown]
	v_mbcnt_lo_u32_b32 v5, v0, 0
	v_mbcnt_hi_u32_b32 v83, v1, v5
	v_cmp_ne_u64_e32 vcc, 0, v[0:1]
	v_cmp_eq_u32_e64 s[34:35], 0, v83
	s_and_b64 s[40:41], vcc, s[34:35]
	v_add_u32_e32 v84, v58, v6
	; wave barrier
	s_and_saveexec_b64 s[34:35], s[40:41]
	s_cbranch_execz .LBB41_20
; %bb.19:                               ;   in Loop: Header=BB41_6 Depth=2
	v_bcnt_u32_b32 v0, v0, 0
	v_bcnt_u32_b32 v0, v1, v0
	s_waitcnt lgkmcnt(0)
	v_add_u32_e32 v0, v82, v0
	ds_write_b32 v84, v0 offset:20
.LBB41_20:                              ;   in Loop: Header=BB41_6 Depth=2
	s_or_b64 exec, exec, s[34:35]
	v_lshrrev_b32_e32 v0, s36, v15
	v_and_b32_e32 v1, 0xff, v0
	v_mul_u32_u24_e32 v6, 20, v1
	v_mad_u32_u24 v1, v1, 20, v58
	; wave barrier
	ds_read_b32 v85, v1 offset:20
	v_and_b32_e32 v1, 1, v0
	v_add_co_u32_e32 v5, vcc, -1, v1
	v_addc_co_u32_e64 v86, s[34:35], 0, -1, vcc
	v_cmp_ne_u32_e32 vcc, 0, v1
	v_xor_b32_e32 v5, vcc_lo, v5
	v_xor_b32_e32 v1, vcc_hi, v86
	v_and_b32_e32 v86, exec_lo, v5
	v_lshlrev_b32_e32 v5, 30, v0
	v_cmp_gt_i64_e32 vcc, 0, v[4:5]
	v_not_b32_e32 v5, v5
	v_ashrrev_i32_e32 v5, 31, v5
	v_xor_b32_e32 v87, vcc_hi, v5
	v_xor_b32_e32 v5, vcc_lo, v5
	v_and_b32_e32 v86, v86, v5
	v_lshlrev_b32_e32 v5, 29, v0
	v_cmp_gt_i64_e32 vcc, 0, v[4:5]
	v_not_b32_e32 v5, v5
	v_and_b32_e32 v1, exec_hi, v1
	v_ashrrev_i32_e32 v5, 31, v5
	v_and_b32_e32 v1, v1, v87
	v_xor_b32_e32 v87, vcc_hi, v5
	v_xor_b32_e32 v5, vcc_lo, v5
	v_and_b32_e32 v86, v86, v5
	v_lshlrev_b32_e32 v5, 28, v0
	v_cmp_gt_i64_e32 vcc, 0, v[4:5]
	v_not_b32_e32 v5, v5
	v_ashrrev_i32_e32 v5, 31, v5
	v_and_b32_e32 v1, v1, v87
	v_xor_b32_e32 v87, vcc_hi, v5
	v_xor_b32_e32 v5, vcc_lo, v5
	v_and_b32_e32 v86, v86, v5
	v_lshlrev_b32_e32 v5, 27, v0
	v_cmp_gt_i64_e32 vcc, 0, v[4:5]
	v_not_b32_e32 v5, v5
	;; [unrolled: 8-line block ×5, first 2 shown]
	v_ashrrev_i32_e32 v0, 31, v0
	v_xor_b32_e32 v5, vcc_hi, v0
	v_xor_b32_e32 v0, vcc_lo, v0
	v_and_b32_e32 v1, v1, v87
	v_and_b32_e32 v0, v86, v0
	;; [unrolled: 1-line block ×3, first 2 shown]
	v_mbcnt_lo_u32_b32 v5, v0, 0
	v_mbcnt_hi_u32_b32 v86, v1, v5
	v_cmp_ne_u64_e32 vcc, 0, v[0:1]
	v_cmp_eq_u32_e64 s[34:35], 0, v86
	s_and_b64 s[40:41], vcc, s[34:35]
	v_add_u32_e32 v87, v58, v6
	; wave barrier
	s_and_saveexec_b64 s[34:35], s[40:41]
	s_cbranch_execz .LBB41_22
; %bb.21:                               ;   in Loop: Header=BB41_6 Depth=2
	v_bcnt_u32_b32 v0, v0, 0
	v_bcnt_u32_b32 v0, v1, v0
	s_waitcnt lgkmcnt(0)
	v_add_u32_e32 v0, v85, v0
	ds_write_b32 v87, v0 offset:20
.LBB41_22:                              ;   in Loop: Header=BB41_6 Depth=2
	s_or_b64 exec, exec, s[34:35]
	v_lshrrev_b32_e32 v0, s36, v14
	v_and_b32_e32 v1, 0xff, v0
	v_mul_u32_u24_e32 v6, 20, v1
	v_mad_u32_u24 v1, v1, 20, v58
	; wave barrier
	ds_read_b32 v88, v1 offset:20
	v_and_b32_e32 v1, 1, v0
	v_add_co_u32_e32 v5, vcc, -1, v1
	v_addc_co_u32_e64 v89, s[34:35], 0, -1, vcc
	v_cmp_ne_u32_e32 vcc, 0, v1
	v_xor_b32_e32 v5, vcc_lo, v5
	v_xor_b32_e32 v1, vcc_hi, v89
	v_and_b32_e32 v89, exec_lo, v5
	v_lshlrev_b32_e32 v5, 30, v0
	v_cmp_gt_i64_e32 vcc, 0, v[4:5]
	v_not_b32_e32 v5, v5
	v_ashrrev_i32_e32 v5, 31, v5
	v_xor_b32_e32 v90, vcc_hi, v5
	v_xor_b32_e32 v5, vcc_lo, v5
	v_and_b32_e32 v89, v89, v5
	v_lshlrev_b32_e32 v5, 29, v0
	v_cmp_gt_i64_e32 vcc, 0, v[4:5]
	v_not_b32_e32 v5, v5
	v_and_b32_e32 v1, exec_hi, v1
	v_ashrrev_i32_e32 v5, 31, v5
	v_and_b32_e32 v1, v1, v90
	v_xor_b32_e32 v90, vcc_hi, v5
	v_xor_b32_e32 v5, vcc_lo, v5
	v_and_b32_e32 v89, v89, v5
	v_lshlrev_b32_e32 v5, 28, v0
	v_cmp_gt_i64_e32 vcc, 0, v[4:5]
	v_not_b32_e32 v5, v5
	v_ashrrev_i32_e32 v5, 31, v5
	v_and_b32_e32 v1, v1, v90
	v_xor_b32_e32 v90, vcc_hi, v5
	v_xor_b32_e32 v5, vcc_lo, v5
	v_and_b32_e32 v89, v89, v5
	v_lshlrev_b32_e32 v5, 27, v0
	v_cmp_gt_i64_e32 vcc, 0, v[4:5]
	v_not_b32_e32 v5, v5
	;; [unrolled: 8-line block ×5, first 2 shown]
	v_ashrrev_i32_e32 v0, 31, v0
	v_xor_b32_e32 v5, vcc_hi, v0
	v_xor_b32_e32 v0, vcc_lo, v0
	v_and_b32_e32 v1, v1, v90
	v_and_b32_e32 v0, v89, v0
	;; [unrolled: 1-line block ×3, first 2 shown]
	v_mbcnt_lo_u32_b32 v5, v0, 0
	v_mbcnt_hi_u32_b32 v89, v1, v5
	v_cmp_ne_u64_e32 vcc, 0, v[0:1]
	v_cmp_eq_u32_e64 s[34:35], 0, v89
	s_and_b64 s[40:41], vcc, s[34:35]
	v_add_u32_e32 v90, v58, v6
	; wave barrier
	s_and_saveexec_b64 s[34:35], s[40:41]
	s_cbranch_execz .LBB41_24
; %bb.23:                               ;   in Loop: Header=BB41_6 Depth=2
	v_bcnt_u32_b32 v0, v0, 0
	v_bcnt_u32_b32 v0, v1, v0
	s_waitcnt lgkmcnt(0)
	v_add_u32_e32 v0, v88, v0
	ds_write_b32 v90, v0 offset:20
.LBB41_24:                              ;   in Loop: Header=BB41_6 Depth=2
	s_or_b64 exec, exec, s[34:35]
	v_lshrrev_b32_e32 v0, s36, v13
	v_and_b32_e32 v1, 0xff, v0
	v_mul_u32_u24_e32 v6, 20, v1
	v_mad_u32_u24 v1, v1, 20, v58
	; wave barrier
	ds_read_b32 v91, v1 offset:20
	v_and_b32_e32 v1, 1, v0
	v_add_co_u32_e32 v5, vcc, -1, v1
	v_addc_co_u32_e64 v92, s[34:35], 0, -1, vcc
	v_cmp_ne_u32_e32 vcc, 0, v1
	v_xor_b32_e32 v5, vcc_lo, v5
	v_xor_b32_e32 v1, vcc_hi, v92
	v_and_b32_e32 v92, exec_lo, v5
	v_lshlrev_b32_e32 v5, 30, v0
	v_cmp_gt_i64_e32 vcc, 0, v[4:5]
	v_not_b32_e32 v5, v5
	v_ashrrev_i32_e32 v5, 31, v5
	v_xor_b32_e32 v93, vcc_hi, v5
	v_xor_b32_e32 v5, vcc_lo, v5
	v_and_b32_e32 v92, v92, v5
	v_lshlrev_b32_e32 v5, 29, v0
	v_cmp_gt_i64_e32 vcc, 0, v[4:5]
	v_not_b32_e32 v5, v5
	v_and_b32_e32 v1, exec_hi, v1
	v_ashrrev_i32_e32 v5, 31, v5
	v_and_b32_e32 v1, v1, v93
	v_xor_b32_e32 v93, vcc_hi, v5
	v_xor_b32_e32 v5, vcc_lo, v5
	v_and_b32_e32 v92, v92, v5
	v_lshlrev_b32_e32 v5, 28, v0
	v_cmp_gt_i64_e32 vcc, 0, v[4:5]
	v_not_b32_e32 v5, v5
	v_ashrrev_i32_e32 v5, 31, v5
	v_and_b32_e32 v1, v1, v93
	v_xor_b32_e32 v93, vcc_hi, v5
	v_xor_b32_e32 v5, vcc_lo, v5
	v_and_b32_e32 v92, v92, v5
	v_lshlrev_b32_e32 v5, 27, v0
	v_cmp_gt_i64_e32 vcc, 0, v[4:5]
	v_not_b32_e32 v5, v5
	;; [unrolled: 8-line block ×5, first 2 shown]
	v_ashrrev_i32_e32 v0, 31, v0
	v_xor_b32_e32 v5, vcc_hi, v0
	v_xor_b32_e32 v0, vcc_lo, v0
	v_and_b32_e32 v1, v1, v93
	v_and_b32_e32 v0, v92, v0
	;; [unrolled: 1-line block ×3, first 2 shown]
	v_mbcnt_lo_u32_b32 v5, v0, 0
	v_mbcnt_hi_u32_b32 v92, v1, v5
	v_cmp_ne_u64_e32 vcc, 0, v[0:1]
	v_cmp_eq_u32_e64 s[34:35], 0, v92
	s_and_b64 s[40:41], vcc, s[34:35]
	v_add_u32_e32 v93, v58, v6
	; wave barrier
	s_and_saveexec_b64 s[34:35], s[40:41]
	s_cbranch_execz .LBB41_26
; %bb.25:                               ;   in Loop: Header=BB41_6 Depth=2
	v_bcnt_u32_b32 v0, v0, 0
	v_bcnt_u32_b32 v0, v1, v0
	s_waitcnt lgkmcnt(0)
	v_add_u32_e32 v0, v91, v0
	ds_write_b32 v93, v0 offset:20
.LBB41_26:                              ;   in Loop: Header=BB41_6 Depth=2
	s_or_b64 exec, exec, s[34:35]
	v_lshrrev_b32_e32 v0, s36, v12
	v_and_b32_e32 v1, 0xff, v0
	v_mul_u32_u24_e32 v6, 20, v1
	v_mad_u32_u24 v1, v1, 20, v58
	; wave barrier
	ds_read_b32 v94, v1 offset:20
	v_and_b32_e32 v1, 1, v0
	v_add_co_u32_e32 v5, vcc, -1, v1
	v_addc_co_u32_e64 v95, s[34:35], 0, -1, vcc
	v_cmp_ne_u32_e32 vcc, 0, v1
	v_xor_b32_e32 v5, vcc_lo, v5
	v_xor_b32_e32 v1, vcc_hi, v95
	v_and_b32_e32 v95, exec_lo, v5
	v_lshlrev_b32_e32 v5, 30, v0
	v_cmp_gt_i64_e32 vcc, 0, v[4:5]
	v_not_b32_e32 v5, v5
	v_ashrrev_i32_e32 v5, 31, v5
	v_xor_b32_e32 v96, vcc_hi, v5
	v_xor_b32_e32 v5, vcc_lo, v5
	v_and_b32_e32 v95, v95, v5
	v_lshlrev_b32_e32 v5, 29, v0
	v_cmp_gt_i64_e32 vcc, 0, v[4:5]
	v_not_b32_e32 v5, v5
	v_and_b32_e32 v1, exec_hi, v1
	v_ashrrev_i32_e32 v5, 31, v5
	v_and_b32_e32 v1, v1, v96
	v_xor_b32_e32 v96, vcc_hi, v5
	v_xor_b32_e32 v5, vcc_lo, v5
	v_and_b32_e32 v95, v95, v5
	v_lshlrev_b32_e32 v5, 28, v0
	v_cmp_gt_i64_e32 vcc, 0, v[4:5]
	v_not_b32_e32 v5, v5
	v_ashrrev_i32_e32 v5, 31, v5
	v_and_b32_e32 v1, v1, v96
	v_xor_b32_e32 v96, vcc_hi, v5
	v_xor_b32_e32 v5, vcc_lo, v5
	v_and_b32_e32 v95, v95, v5
	v_lshlrev_b32_e32 v5, 27, v0
	v_cmp_gt_i64_e32 vcc, 0, v[4:5]
	v_not_b32_e32 v5, v5
	;; [unrolled: 8-line block ×5, first 2 shown]
	v_ashrrev_i32_e32 v0, 31, v0
	v_xor_b32_e32 v5, vcc_hi, v0
	v_xor_b32_e32 v0, vcc_lo, v0
	v_and_b32_e32 v1, v1, v96
	v_and_b32_e32 v0, v95, v0
	v_and_b32_e32 v1, v1, v5
	v_mbcnt_lo_u32_b32 v5, v0, 0
	v_mbcnt_hi_u32_b32 v95, v1, v5
	v_cmp_ne_u64_e32 vcc, 0, v[0:1]
	v_cmp_eq_u32_e64 s[34:35], 0, v95
	s_and_b64 s[40:41], vcc, s[34:35]
	v_add_u32_e32 v96, v58, v6
	; wave barrier
	s_and_saveexec_b64 s[34:35], s[40:41]
	s_cbranch_execz .LBB41_28
; %bb.27:                               ;   in Loop: Header=BB41_6 Depth=2
	v_bcnt_u32_b32 v0, v0, 0
	v_bcnt_u32_b32 v0, v1, v0
	s_waitcnt lgkmcnt(0)
	v_add_u32_e32 v0, v94, v0
	ds_write_b32 v96, v0 offset:20
.LBB41_28:                              ;   in Loop: Header=BB41_6 Depth=2
	s_or_b64 exec, exec, s[34:35]
	v_lshrrev_b32_e32 v0, s36, v11
	v_and_b32_e32 v1, 0xff, v0
	v_mul_u32_u24_e32 v6, 20, v1
	v_mad_u32_u24 v1, v1, 20, v58
	; wave barrier
	ds_read_b32 v97, v1 offset:20
	v_and_b32_e32 v1, 1, v0
	v_add_co_u32_e32 v5, vcc, -1, v1
	v_addc_co_u32_e64 v98, s[34:35], 0, -1, vcc
	v_cmp_ne_u32_e32 vcc, 0, v1
	v_xor_b32_e32 v5, vcc_lo, v5
	v_xor_b32_e32 v1, vcc_hi, v98
	v_and_b32_e32 v98, exec_lo, v5
	v_lshlrev_b32_e32 v5, 30, v0
	v_cmp_gt_i64_e32 vcc, 0, v[4:5]
	v_not_b32_e32 v5, v5
	v_ashrrev_i32_e32 v5, 31, v5
	v_xor_b32_e32 v99, vcc_hi, v5
	v_xor_b32_e32 v5, vcc_lo, v5
	v_and_b32_e32 v98, v98, v5
	v_lshlrev_b32_e32 v5, 29, v0
	v_cmp_gt_i64_e32 vcc, 0, v[4:5]
	v_not_b32_e32 v5, v5
	v_and_b32_e32 v1, exec_hi, v1
	v_ashrrev_i32_e32 v5, 31, v5
	v_and_b32_e32 v1, v1, v99
	v_xor_b32_e32 v99, vcc_hi, v5
	v_xor_b32_e32 v5, vcc_lo, v5
	v_and_b32_e32 v98, v98, v5
	v_lshlrev_b32_e32 v5, 28, v0
	v_cmp_gt_i64_e32 vcc, 0, v[4:5]
	v_not_b32_e32 v5, v5
	v_ashrrev_i32_e32 v5, 31, v5
	v_and_b32_e32 v1, v1, v99
	v_xor_b32_e32 v99, vcc_hi, v5
	v_xor_b32_e32 v5, vcc_lo, v5
	v_and_b32_e32 v98, v98, v5
	v_lshlrev_b32_e32 v5, 27, v0
	v_cmp_gt_i64_e32 vcc, 0, v[4:5]
	v_not_b32_e32 v5, v5
	;; [unrolled: 8-line block ×5, first 2 shown]
	v_ashrrev_i32_e32 v0, 31, v0
	v_xor_b32_e32 v5, vcc_hi, v0
	v_xor_b32_e32 v0, vcc_lo, v0
	v_and_b32_e32 v1, v1, v99
	v_and_b32_e32 v0, v98, v0
	;; [unrolled: 1-line block ×3, first 2 shown]
	v_mbcnt_lo_u32_b32 v5, v0, 0
	v_mbcnt_hi_u32_b32 v98, v1, v5
	v_cmp_ne_u64_e32 vcc, 0, v[0:1]
	v_cmp_eq_u32_e64 s[34:35], 0, v98
	s_and_b64 s[40:41], vcc, s[34:35]
	v_add_u32_e32 v99, v58, v6
	; wave barrier
	s_and_saveexec_b64 s[34:35], s[40:41]
	s_cbranch_execz .LBB41_30
; %bb.29:                               ;   in Loop: Header=BB41_6 Depth=2
	v_bcnt_u32_b32 v0, v0, 0
	v_bcnt_u32_b32 v0, v1, v0
	s_waitcnt lgkmcnt(0)
	v_add_u32_e32 v0, v97, v0
	ds_write_b32 v99, v0 offset:20
.LBB41_30:                              ;   in Loop: Header=BB41_6 Depth=2
	s_or_b64 exec, exec, s[34:35]
	v_lshrrev_b32_e32 v0, s36, v10
	v_and_b32_e32 v1, 0xff, v0
	v_mul_u32_u24_e32 v6, 20, v1
	v_mad_u32_u24 v1, v1, 20, v58
	; wave barrier
	ds_read_b32 v100, v1 offset:20
	v_and_b32_e32 v1, 1, v0
	v_add_co_u32_e32 v5, vcc, -1, v1
	v_addc_co_u32_e64 v101, s[34:35], 0, -1, vcc
	v_cmp_ne_u32_e32 vcc, 0, v1
	v_xor_b32_e32 v5, vcc_lo, v5
	v_xor_b32_e32 v1, vcc_hi, v101
	v_and_b32_e32 v101, exec_lo, v5
	v_lshlrev_b32_e32 v5, 30, v0
	v_cmp_gt_i64_e32 vcc, 0, v[4:5]
	v_not_b32_e32 v5, v5
	v_ashrrev_i32_e32 v5, 31, v5
	v_xor_b32_e32 v102, vcc_hi, v5
	v_xor_b32_e32 v5, vcc_lo, v5
	v_and_b32_e32 v101, v101, v5
	v_lshlrev_b32_e32 v5, 29, v0
	v_cmp_gt_i64_e32 vcc, 0, v[4:5]
	v_not_b32_e32 v5, v5
	v_and_b32_e32 v1, exec_hi, v1
	v_ashrrev_i32_e32 v5, 31, v5
	v_and_b32_e32 v1, v1, v102
	v_xor_b32_e32 v102, vcc_hi, v5
	v_xor_b32_e32 v5, vcc_lo, v5
	v_and_b32_e32 v101, v101, v5
	v_lshlrev_b32_e32 v5, 28, v0
	v_cmp_gt_i64_e32 vcc, 0, v[4:5]
	v_not_b32_e32 v5, v5
	v_ashrrev_i32_e32 v5, 31, v5
	v_and_b32_e32 v1, v1, v102
	v_xor_b32_e32 v102, vcc_hi, v5
	v_xor_b32_e32 v5, vcc_lo, v5
	v_and_b32_e32 v101, v101, v5
	v_lshlrev_b32_e32 v5, 27, v0
	v_cmp_gt_i64_e32 vcc, 0, v[4:5]
	v_not_b32_e32 v5, v5
	;; [unrolled: 8-line block ×5, first 2 shown]
	v_ashrrev_i32_e32 v0, 31, v0
	v_xor_b32_e32 v5, vcc_hi, v0
	v_xor_b32_e32 v0, vcc_lo, v0
	v_and_b32_e32 v1, v1, v102
	v_and_b32_e32 v0, v101, v0
	;; [unrolled: 1-line block ×3, first 2 shown]
	v_mbcnt_lo_u32_b32 v5, v0, 0
	v_mbcnt_hi_u32_b32 v101, v1, v5
	v_cmp_ne_u64_e32 vcc, 0, v[0:1]
	v_cmp_eq_u32_e64 s[34:35], 0, v101
	s_and_b64 s[40:41], vcc, s[34:35]
	v_add_u32_e32 v102, v58, v6
	; wave barrier
	s_and_saveexec_b64 s[34:35], s[40:41]
	s_cbranch_execz .LBB41_32
; %bb.31:                               ;   in Loop: Header=BB41_6 Depth=2
	v_bcnt_u32_b32 v0, v0, 0
	v_bcnt_u32_b32 v0, v1, v0
	s_waitcnt lgkmcnt(0)
	v_add_u32_e32 v0, v100, v0
	ds_write_b32 v102, v0 offset:20
.LBB41_32:                              ;   in Loop: Header=BB41_6 Depth=2
	s_or_b64 exec, exec, s[34:35]
	v_lshrrev_b32_e32 v0, s36, v9
	v_and_b32_e32 v1, 0xff, v0
	v_mul_u32_u24_e32 v6, 20, v1
	v_mad_u32_u24 v1, v1, 20, v58
	; wave barrier
	ds_read_b32 v103, v1 offset:20
	v_and_b32_e32 v1, 1, v0
	v_add_co_u32_e32 v5, vcc, -1, v1
	v_addc_co_u32_e64 v104, s[34:35], 0, -1, vcc
	v_cmp_ne_u32_e32 vcc, 0, v1
	v_xor_b32_e32 v5, vcc_lo, v5
	v_xor_b32_e32 v1, vcc_hi, v104
	v_and_b32_e32 v104, exec_lo, v5
	v_lshlrev_b32_e32 v5, 30, v0
	v_cmp_gt_i64_e32 vcc, 0, v[4:5]
	v_not_b32_e32 v5, v5
	v_ashrrev_i32_e32 v5, 31, v5
	v_xor_b32_e32 v105, vcc_hi, v5
	v_xor_b32_e32 v5, vcc_lo, v5
	v_and_b32_e32 v104, v104, v5
	v_lshlrev_b32_e32 v5, 29, v0
	v_cmp_gt_i64_e32 vcc, 0, v[4:5]
	v_not_b32_e32 v5, v5
	v_and_b32_e32 v1, exec_hi, v1
	v_ashrrev_i32_e32 v5, 31, v5
	v_and_b32_e32 v1, v1, v105
	v_xor_b32_e32 v105, vcc_hi, v5
	v_xor_b32_e32 v5, vcc_lo, v5
	v_and_b32_e32 v104, v104, v5
	v_lshlrev_b32_e32 v5, 28, v0
	v_cmp_gt_i64_e32 vcc, 0, v[4:5]
	v_not_b32_e32 v5, v5
	v_ashrrev_i32_e32 v5, 31, v5
	v_and_b32_e32 v1, v1, v105
	v_xor_b32_e32 v105, vcc_hi, v5
	v_xor_b32_e32 v5, vcc_lo, v5
	v_and_b32_e32 v104, v104, v5
	v_lshlrev_b32_e32 v5, 27, v0
	v_cmp_gt_i64_e32 vcc, 0, v[4:5]
	v_not_b32_e32 v5, v5
	;; [unrolled: 8-line block ×5, first 2 shown]
	v_ashrrev_i32_e32 v0, 31, v0
	v_xor_b32_e32 v5, vcc_hi, v0
	v_xor_b32_e32 v0, vcc_lo, v0
	v_and_b32_e32 v1, v1, v105
	v_and_b32_e32 v0, v104, v0
	;; [unrolled: 1-line block ×3, first 2 shown]
	v_mbcnt_lo_u32_b32 v5, v0, 0
	v_mbcnt_hi_u32_b32 v104, v1, v5
	v_cmp_ne_u64_e32 vcc, 0, v[0:1]
	v_cmp_eq_u32_e64 s[34:35], 0, v104
	s_and_b64 s[40:41], vcc, s[34:35]
	v_add_u32_e32 v105, v58, v6
	; wave barrier
	s_and_saveexec_b64 s[34:35], s[40:41]
	s_cbranch_execz .LBB41_34
; %bb.33:                               ;   in Loop: Header=BB41_6 Depth=2
	v_bcnt_u32_b32 v0, v0, 0
	v_bcnt_u32_b32 v0, v1, v0
	s_waitcnt lgkmcnt(0)
	v_add_u32_e32 v0, v103, v0
	ds_write_b32 v105, v0 offset:20
.LBB41_34:                              ;   in Loop: Header=BB41_6 Depth=2
	s_or_b64 exec, exec, s[34:35]
	v_lshrrev_b32_e32 v0, s36, v8
	v_and_b32_e32 v1, 0xff, v0
	v_mul_u32_u24_e32 v6, 20, v1
	v_mad_u32_u24 v1, v1, 20, v58
	; wave barrier
	ds_read_b32 v106, v1 offset:20
	v_and_b32_e32 v1, 1, v0
	v_add_co_u32_e32 v5, vcc, -1, v1
	v_addc_co_u32_e64 v107, s[34:35], 0, -1, vcc
	v_cmp_ne_u32_e32 vcc, 0, v1
	v_xor_b32_e32 v5, vcc_lo, v5
	v_xor_b32_e32 v1, vcc_hi, v107
	v_and_b32_e32 v107, exec_lo, v5
	v_lshlrev_b32_e32 v5, 30, v0
	v_cmp_gt_i64_e32 vcc, 0, v[4:5]
	v_not_b32_e32 v5, v5
	v_ashrrev_i32_e32 v5, 31, v5
	v_xor_b32_e32 v108, vcc_hi, v5
	v_xor_b32_e32 v5, vcc_lo, v5
	v_and_b32_e32 v107, v107, v5
	v_lshlrev_b32_e32 v5, 29, v0
	v_cmp_gt_i64_e32 vcc, 0, v[4:5]
	v_not_b32_e32 v5, v5
	v_and_b32_e32 v1, exec_hi, v1
	v_ashrrev_i32_e32 v5, 31, v5
	v_and_b32_e32 v1, v1, v108
	v_xor_b32_e32 v108, vcc_hi, v5
	v_xor_b32_e32 v5, vcc_lo, v5
	v_and_b32_e32 v107, v107, v5
	v_lshlrev_b32_e32 v5, 28, v0
	v_cmp_gt_i64_e32 vcc, 0, v[4:5]
	v_not_b32_e32 v5, v5
	v_ashrrev_i32_e32 v5, 31, v5
	v_and_b32_e32 v1, v1, v108
	v_xor_b32_e32 v108, vcc_hi, v5
	v_xor_b32_e32 v5, vcc_lo, v5
	v_and_b32_e32 v107, v107, v5
	v_lshlrev_b32_e32 v5, 27, v0
	v_cmp_gt_i64_e32 vcc, 0, v[4:5]
	v_not_b32_e32 v5, v5
	;; [unrolled: 8-line block ×5, first 2 shown]
	v_ashrrev_i32_e32 v0, 31, v0
	v_xor_b32_e32 v5, vcc_hi, v0
	v_xor_b32_e32 v0, vcc_lo, v0
	v_and_b32_e32 v1, v1, v108
	v_and_b32_e32 v0, v107, v0
	;; [unrolled: 1-line block ×3, first 2 shown]
	v_mbcnt_lo_u32_b32 v5, v0, 0
	v_mbcnt_hi_u32_b32 v107, v1, v5
	v_cmp_ne_u64_e32 vcc, 0, v[0:1]
	v_cmp_eq_u32_e64 s[34:35], 0, v107
	s_and_b64 s[40:41], vcc, s[34:35]
	v_add_u32_e32 v108, v58, v6
	; wave barrier
	s_and_saveexec_b64 s[34:35], s[40:41]
	s_cbranch_execz .LBB41_36
; %bb.35:                               ;   in Loop: Header=BB41_6 Depth=2
	v_bcnt_u32_b32 v0, v0, 0
	v_bcnt_u32_b32 v0, v1, v0
	s_waitcnt lgkmcnt(0)
	v_add_u32_e32 v0, v106, v0
	ds_write_b32 v108, v0 offset:20
.LBB41_36:                              ;   in Loop: Header=BB41_6 Depth=2
	s_or_b64 exec, exec, s[34:35]
	v_lshrrev_b32_e32 v0, s36, v7
	v_and_b32_e32 v1, 0xff, v0
	v_mul_u32_u24_e32 v6, 20, v1
	v_mad_u32_u24 v1, v1, 20, v58
	; wave barrier
	ds_read_b32 v109, v1 offset:20
	v_and_b32_e32 v1, 1, v0
	v_add_co_u32_e32 v5, vcc, -1, v1
	v_addc_co_u32_e64 v110, s[34:35], 0, -1, vcc
	v_cmp_ne_u32_e32 vcc, 0, v1
	v_xor_b32_e32 v5, vcc_lo, v5
	v_xor_b32_e32 v1, vcc_hi, v110
	v_and_b32_e32 v110, exec_lo, v5
	v_lshlrev_b32_e32 v5, 30, v0
	v_cmp_gt_i64_e32 vcc, 0, v[4:5]
	v_not_b32_e32 v5, v5
	v_ashrrev_i32_e32 v5, 31, v5
	v_xor_b32_e32 v111, vcc_hi, v5
	v_xor_b32_e32 v5, vcc_lo, v5
	v_and_b32_e32 v110, v110, v5
	v_lshlrev_b32_e32 v5, 29, v0
	v_cmp_gt_i64_e32 vcc, 0, v[4:5]
	v_not_b32_e32 v5, v5
	v_and_b32_e32 v1, exec_hi, v1
	v_ashrrev_i32_e32 v5, 31, v5
	v_and_b32_e32 v1, v1, v111
	v_xor_b32_e32 v111, vcc_hi, v5
	v_xor_b32_e32 v5, vcc_lo, v5
	v_and_b32_e32 v110, v110, v5
	v_lshlrev_b32_e32 v5, 28, v0
	v_cmp_gt_i64_e32 vcc, 0, v[4:5]
	v_not_b32_e32 v5, v5
	v_ashrrev_i32_e32 v5, 31, v5
	v_and_b32_e32 v1, v1, v111
	v_xor_b32_e32 v111, vcc_hi, v5
	v_xor_b32_e32 v5, vcc_lo, v5
	v_and_b32_e32 v110, v110, v5
	v_lshlrev_b32_e32 v5, 27, v0
	v_cmp_gt_i64_e32 vcc, 0, v[4:5]
	v_not_b32_e32 v5, v5
	;; [unrolled: 8-line block ×5, first 2 shown]
	v_ashrrev_i32_e32 v0, 31, v0
	v_xor_b32_e32 v5, vcc_hi, v0
	v_xor_b32_e32 v0, vcc_lo, v0
	v_and_b32_e32 v1, v1, v111
	v_and_b32_e32 v0, v110, v0
	;; [unrolled: 1-line block ×3, first 2 shown]
	v_mbcnt_lo_u32_b32 v5, v0, 0
	v_mbcnt_hi_u32_b32 v111, v1, v5
	v_cmp_ne_u64_e32 vcc, 0, v[0:1]
	v_cmp_eq_u32_e64 s[34:35], 0, v111
	s_and_b64 s[40:41], vcc, s[34:35]
	v_add_u32_e32 v112, v58, v6
	; wave barrier
	s_and_saveexec_b64 s[34:35], s[40:41]
	s_cbranch_execz .LBB41_38
; %bb.37:                               ;   in Loop: Header=BB41_6 Depth=2
	v_bcnt_u32_b32 v0, v0, 0
	v_bcnt_u32_b32 v0, v1, v0
	s_waitcnt lgkmcnt(0)
	v_add_u32_e32 v0, v109, v0
	ds_write_b32 v112, v0 offset:20
.LBB41_38:                              ;   in Loop: Header=BB41_6 Depth=2
	s_or_b64 exec, exec, s[34:35]
	; wave barrier
	s_waitcnt lgkmcnt(0)
	s_barrier
	ds_read2_b32 v[5:6], v19 offset0:5 offset1:6
	ds_read2_b32 v[0:1], v19 offset0:7 offset1:8
	s_waitcnt lgkmcnt(1)
	v_add_u32_e32 v110, v6, v5
	s_waitcnt lgkmcnt(0)
	v_add3_u32 v1, v110, v0, v1
	s_nop 1
	v_mov_b32_dpp v110, v1 row_shr:1 row_mask:0xf bank_mask:0xf
	v_cndmask_b32_e64 v110, v110, 0, s[2:3]
	v_add_u32_e32 v1, v110, v1
	s_nop 1
	v_mov_b32_dpp v110, v1 row_shr:2 row_mask:0xf bank_mask:0xf
	v_cndmask_b32_e64 v110, 0, v110, s[4:5]
	v_add_u32_e32 v1, v1, v110
	;; [unrolled: 4-line block ×4, first 2 shown]
	s_nop 1
	v_mov_b32_dpp v110, v1 row_bcast:15 row_mask:0xf bank_mask:0xf
	v_cndmask_b32_e64 v110, v110, 0, s[10:11]
	v_add_u32_e32 v1, v1, v110
	s_nop 1
	v_mov_b32_dpp v110, v1 row_bcast:31 row_mask:0xf bank_mask:0xf
	v_cndmask_b32_e64 v110, 0, v110, s[12:13]
	v_add_u32_e32 v1, v1, v110
	s_and_saveexec_b64 s[34:35], s[14:15]
; %bb.39:                               ;   in Loop: Header=BB41_6 Depth=2
	ds_write_b32 v38, v1
; %bb.40:                               ;   in Loop: Header=BB41_6 Depth=2
	s_or_b64 exec, exec, s[34:35]
	s_waitcnt lgkmcnt(0)
	s_barrier
	s_and_saveexec_b64 s[34:35], s[16:17]
	s_cbranch_execz .LBB41_42
; %bb.41:                               ;   in Loop: Header=BB41_6 Depth=2
	ds_read_b32 v110, v39
	s_waitcnt lgkmcnt(0)
	s_nop 0
	v_mov_b32_dpp v113, v110 row_shr:1 row_mask:0xf bank_mask:0xf
	v_cndmask_b32_e64 v113, v113, 0, s[26:27]
	v_add_u32_e32 v110, v113, v110
	s_nop 1
	v_mov_b32_dpp v113, v110 row_shr:2 row_mask:0xf bank_mask:0xf
	v_cndmask_b32_e64 v113, 0, v113, s[28:29]
	v_add_u32_e32 v110, v110, v113
	;; [unrolled: 4-line block ×3, first 2 shown]
	ds_write_b32 v39, v110
.LBB41_42:                              ;   in Loop: Header=BB41_6 Depth=2
	s_or_b64 exec, exec, s[34:35]
	v_mov_b32_e32 v110, 0
	s_waitcnt lgkmcnt(0)
	s_barrier
	s_and_saveexec_b64 s[34:35], s[18:19]
; %bb.43:                               ;   in Loop: Header=BB41_6 Depth=2
	ds_read_b32 v110, v40
; %bb.44:                               ;   in Loop: Header=BB41_6 Depth=2
	s_or_b64 exec, exec, s[34:35]
	s_waitcnt lgkmcnt(0)
	v_add_u32_e32 v1, v110, v1
	ds_bpermute_b32 v1, v37, v1
	s_cmp_gt_u32 s36, 23
	s_waitcnt lgkmcnt(0)
	v_cndmask_b32_e64 v1, v1, v110, s[20:21]
	v_cndmask_b32_e64 v1, v1, 0, s[22:23]
	v_add_u32_e32 v5, v1, v5
	v_add_u32_e32 v6, v5, v6
	;; [unrolled: 1-line block ×3, first 2 shown]
	ds_write2_b32 v19, v1, v5 offset0:5 offset1:6
	ds_write2_b32 v19, v6, v0 offset0:7 offset1:8
	s_waitcnt lgkmcnt(0)
	s_barrier
	ds_read_b32 v0, v66 offset:20
	ds_read_b32 v1, v69 offset:20
	s_waitcnt lgkmcnt(1)
	v_add_u32_e32 v110, v0, v65
	ds_read_b32 v0, v72 offset:20
	ds_read_b32 v5, v75 offset:20
	;; [unrolled: 1-line block ×3, first 2 shown]
	s_waitcnt lgkmcnt(3)
	v_add3_u32 v78, v68, v67, v1
	ds_read_b32 v1, v81 offset:20
	s_waitcnt lgkmcnt(3)
	v_add3_u32 v75, v71, v70, v0
	ds_read_b32 v0, v84 offset:20
	s_waitcnt lgkmcnt(3)
	v_add3_u32 v73, v74, v73, v5
	s_waitcnt lgkmcnt(2)
	v_add3_u32 v70, v77, v76, v6
	;; [unrolled: 2-line block ×3, first 2 shown]
	ds_read_b32 v1, v87 offset:20
	ds_read_b32 v5, v90 offset:20
	;; [unrolled: 1-line block ×3, first 2 shown]
	s_waitcnt lgkmcnt(3)
	v_add3_u32 v72, v83, v82, v0
	ds_read_b32 v0, v96 offset:20
	s_waitcnt lgkmcnt(3)
	v_add3_u32 v71, v86, v85, v1
	s_waitcnt lgkmcnt(2)
	v_add3_u32 v68, v89, v88, v5
	;; [unrolled: 2-line block ×3, first 2 shown]
	ds_read_b32 v1, v99 offset:20
	s_waitcnt lgkmcnt(1)
	v_add3_u32 v6, v95, v94, v0
	ds_read_b32 v0, v102 offset:20
	ds_read_b32 v5, v105 offset:20
	;; [unrolled: 1-line block ×4, first 2 shown]
	s_waitcnt lgkmcnt(4)
	v_add3_u32 v67, v98, v97, v1
	s_waitcnt lgkmcnt(3)
	v_add3_u32 v66, v101, v100, v0
	;; [unrolled: 2-line block ×5, first 2 shown]
	s_cbranch_scc0 .LBB41_5
; %bb.45:                               ;   in Loop: Header=BB41_2 Depth=1
                                        ; implicit-def: $sgpr36
                                        ; implicit-def: $vgpr74
                                        ; implicit-def: $vgpr76
                                        ; implicit-def: $vgpr77
                                        ; implicit-def: $vgpr79
                                        ; implicit-def: $vgpr80
                                        ; implicit-def: $vgpr81
                                        ; implicit-def: $vgpr82
                                        ; implicit-def: $vgpr83
                                        ; implicit-def: $vgpr84
                                        ; implicit-def: $vgpr85
                                        ; implicit-def: $vgpr86
                                        ; implicit-def: $vgpr87
                                        ; implicit-def: $vgpr88
                                        ; implicit-def: $vgpr89
                                        ; implicit-def: $vgpr90
                                        ; implicit-def: $vgpr91
.LBB41_46:                              ;   in Loop: Header=BB41_2 Depth=1
	v_lshrrev_b32_e32 v74, 3, v110
	v_and_b32_e32 v74, 0x1ffffffc, v74
	v_lshl_add_u32 v74, v110, 2, v74
	s_barrier
	ds_write_b32 v74, v64
	v_lshrrev_b32_e32 v64, 3, v78
	v_and_b32_e32 v64, 0x1ffffffc, v64
	v_lshl_add_u32 v64, v78, 2, v64
	ds_write_b32 v64, v63
	v_lshrrev_b32_e32 v63, 3, v75
	v_and_b32_e32 v63, 0x1ffffffc, v63
	v_lshl_add_u32 v63, v75, 2, v63
	;; [unrolled: 4-line block ×15, first 2 shown]
	ds_write_b32 v0, v7
	s_waitcnt lgkmcnt(0)
	s_barrier
	ds_read2_b32 v[0:1], v41 offset1:1
	ds_read2_b32 v[5:6], v41 offset0:2 offset1:3
	ds_read2_b32 v[7:8], v41 offset0:4 offset1:5
	;; [unrolled: 1-line block ×7, first 2 shown]
	s_waitcnt lgkmcnt(0)
	s_barrier
	s_and_saveexec_b64 s[34:35], s[0:1]
; %bb.47:                               ;   in Loop: Header=BB41_2 Depth=1
	ds_write2st64_b32 v39, v59, v59 offset0:10 offset1:15
; %bb.48:                               ;   in Loop: Header=BB41_2 Depth=1
	s_or_b64 exec, exec, s[34:35]
	v_xor_b32_e32 v61, 0x80000000, v17
	v_xor_b32_e32 v62, 0x80000000, v18
	v_cmp_ne_u32_e32 vcc, v17, v18
	v_lshlrev_b32_e32 v61, 2, v61
	s_waitcnt lgkmcnt(0)
	s_barrier
	ds_write_b32 v39, v62
	s_and_saveexec_b64 s[34:35], vcc
	s_cbranch_execz .LBB41_50
; %bb.49:                               ;   in Loop: Header=BB41_2 Depth=1
	v_lshlrev_b32_e32 v62, 2, v62
	ds_write_b32 v62, v42 offset:2560
	ds_write_b32 v61, v42 offset:3840
.LBB41_50:                              ;   in Loop: Header=BB41_2 Depth=1
	s_or_b64 exec, exec, s[34:35]
	v_xor_b32_e32 v62, 0x80000000, v16
	v_cmp_ne_u32_e32 vcc, v16, v17
	v_lshlrev_b32_e32 v62, 2, v62
	s_and_saveexec_b64 s[34:35], vcc
	s_cbranch_execz .LBB41_52
; %bb.51:                               ;   in Loop: Header=BB41_2 Depth=1
	ds_write_b32 v61, v43 offset:2560
	ds_write_b32 v62, v43 offset:3840
.LBB41_52:                              ;   in Loop: Header=BB41_2 Depth=1
	s_or_b64 exec, exec, s[34:35]
	v_xor_b32_e32 v61, 0x80000000, v15
	v_cmp_ne_u32_e32 vcc, v15, v16
	v_lshlrev_b32_e32 v61, 2, v61
	s_and_saveexec_b64 s[34:35], vcc
	s_cbranch_execz .LBB41_54
; %bb.53:                               ;   in Loop: Header=BB41_2 Depth=1
	ds_write_b32 v62, v44 offset:2560
	ds_write_b32 v61, v44 offset:3840
.LBB41_54:                              ;   in Loop: Header=BB41_2 Depth=1
	s_or_b64 exec, exec, s[34:35]
	v_xor_b32_e32 v62, 0x80000000, v14
	v_cmp_ne_u32_e32 vcc, v14, v15
	v_lshlrev_b32_e32 v62, 2, v62
	s_and_saveexec_b64 s[34:35], vcc
	s_cbranch_execz .LBB41_56
; %bb.55:                               ;   in Loop: Header=BB41_2 Depth=1
	ds_write_b32 v61, v45 offset:2560
	ds_write_b32 v62, v45 offset:3840
.LBB41_56:                              ;   in Loop: Header=BB41_2 Depth=1
	s_or_b64 exec, exec, s[34:35]
	v_xor_b32_e32 v61, 0x80000000, v13
	v_cmp_ne_u32_e32 vcc, v13, v14
	v_lshlrev_b32_e32 v61, 2, v61
	s_and_saveexec_b64 s[34:35], vcc
	s_cbranch_execz .LBB41_58
; %bb.57:                               ;   in Loop: Header=BB41_2 Depth=1
	ds_write_b32 v62, v46 offset:2560
	ds_write_b32 v61, v46 offset:3840
.LBB41_58:                              ;   in Loop: Header=BB41_2 Depth=1
	s_or_b64 exec, exec, s[34:35]
	v_xor_b32_e32 v62, 0x80000000, v12
	v_cmp_ne_u32_e32 vcc, v12, v13
	v_lshlrev_b32_e32 v62, 2, v62
	s_and_saveexec_b64 s[34:35], vcc
	s_cbranch_execz .LBB41_60
; %bb.59:                               ;   in Loop: Header=BB41_2 Depth=1
	ds_write_b32 v61, v47 offset:2560
	ds_write_b32 v62, v47 offset:3840
.LBB41_60:                              ;   in Loop: Header=BB41_2 Depth=1
	s_or_b64 exec, exec, s[34:35]
	v_xor_b32_e32 v61, 0x80000000, v11
	v_cmp_ne_u32_e32 vcc, v11, v12
	v_lshlrev_b32_e32 v61, 2, v61
	s_and_saveexec_b64 s[34:35], vcc
	s_cbranch_execz .LBB41_62
; %bb.61:                               ;   in Loop: Header=BB41_2 Depth=1
	ds_write_b32 v62, v48 offset:2560
	ds_write_b32 v61, v48 offset:3840
.LBB41_62:                              ;   in Loop: Header=BB41_2 Depth=1
	s_or_b64 exec, exec, s[34:35]
	v_xor_b32_e32 v62, 0x80000000, v10
	v_cmp_ne_u32_e32 vcc, v10, v11
	v_lshlrev_b32_e32 v62, 2, v62
	s_and_saveexec_b64 s[34:35], vcc
	s_cbranch_execz .LBB41_64
; %bb.63:                               ;   in Loop: Header=BB41_2 Depth=1
	ds_write_b32 v61, v49 offset:2560
	ds_write_b32 v62, v49 offset:3840
.LBB41_64:                              ;   in Loop: Header=BB41_2 Depth=1
	s_or_b64 exec, exec, s[34:35]
	v_xor_b32_e32 v61, 0x80000000, v9
	v_cmp_ne_u32_e32 vcc, v9, v10
	v_lshlrev_b32_e32 v61, 2, v61
	s_and_saveexec_b64 s[34:35], vcc
	s_cbranch_execz .LBB41_66
; %bb.65:                               ;   in Loop: Header=BB41_2 Depth=1
	ds_write_b32 v62, v50 offset:2560
	ds_write_b32 v61, v50 offset:3840
.LBB41_66:                              ;   in Loop: Header=BB41_2 Depth=1
	s_or_b64 exec, exec, s[34:35]
	v_xor_b32_e32 v62, 0x80000000, v8
	v_cmp_ne_u32_e32 vcc, v8, v9
	v_lshlrev_b32_e32 v62, 2, v62
	s_and_saveexec_b64 s[34:35], vcc
	s_cbranch_execz .LBB41_68
; %bb.67:                               ;   in Loop: Header=BB41_2 Depth=1
	ds_write_b32 v61, v51 offset:2560
	ds_write_b32 v62, v51 offset:3840
.LBB41_68:                              ;   in Loop: Header=BB41_2 Depth=1
	s_or_b64 exec, exec, s[34:35]
	v_xor_b32_e32 v61, 0x80000000, v7
	v_cmp_ne_u32_e32 vcc, v7, v8
	v_lshlrev_b32_e32 v61, 2, v61
	s_and_saveexec_b64 s[34:35], vcc
	s_cbranch_execz .LBB41_70
; %bb.69:                               ;   in Loop: Header=BB41_2 Depth=1
	ds_write_b32 v62, v52 offset:2560
	ds_write_b32 v61, v52 offset:3840
.LBB41_70:                              ;   in Loop: Header=BB41_2 Depth=1
	s_or_b64 exec, exec, s[34:35]
	v_xor_b32_e32 v62, 0x80000000, v6
	v_cmp_ne_u32_e32 vcc, v6, v7
	v_lshlrev_b32_e32 v62, 2, v62
	s_and_saveexec_b64 s[34:35], vcc
	s_cbranch_execz .LBB41_72
; %bb.71:                               ;   in Loop: Header=BB41_2 Depth=1
	ds_write_b32 v61, v53 offset:2560
	ds_write_b32 v62, v53 offset:3840
.LBB41_72:                              ;   in Loop: Header=BB41_2 Depth=1
	s_or_b64 exec, exec, s[34:35]
	v_xor_b32_e32 v61, 0x80000000, v5
	v_cmp_ne_u32_e32 vcc, v5, v6
	v_lshlrev_b32_e32 v61, 2, v61
	s_and_saveexec_b64 s[34:35], vcc
	s_cbranch_execz .LBB41_74
; %bb.73:                               ;   in Loop: Header=BB41_2 Depth=1
	ds_write_b32 v62, v54 offset:2560
	ds_write_b32 v61, v54 offset:3840
.LBB41_74:                              ;   in Loop: Header=BB41_2 Depth=1
	s_or_b64 exec, exec, s[34:35]
	v_xor_b32_e32 v62, 0x80000000, v1
	v_cmp_ne_u32_e32 vcc, v1, v5
	v_lshlrev_b32_e32 v63, 2, v62
	s_and_saveexec_b64 s[34:35], vcc
	s_cbranch_execz .LBB41_76
; %bb.75:                               ;   in Loop: Header=BB41_2 Depth=1
	ds_write_b32 v61, v55 offset:2560
	ds_write_b32 v63, v55 offset:3840
.LBB41_76:                              ;   in Loop: Header=BB41_2 Depth=1
	s_or_b64 exec, exec, s[34:35]
	v_xor_b32_e32 v62, 0x80000000, v0
	v_cmp_ne_u32_e32 vcc, v0, v1
	v_lshlrev_b32_e32 v61, 2, v62
	s_and_saveexec_b64 s[34:35], vcc
	s_cbranch_execz .LBB41_78
; %bb.77:                               ;   in Loop: Header=BB41_2 Depth=1
	ds_write_b32 v63, v56 offset:2560
	ds_write_b32 v61, v56 offset:3840
.LBB41_78:                              ;   in Loop: Header=BB41_2 Depth=1
	s_or_b64 exec, exec, s[34:35]
	s_waitcnt lgkmcnt(0)
	s_barrier
	s_and_saveexec_b64 s[34:35], s[24:25]
	s_cbranch_execz .LBB41_81
; %bb.79:                               ;   in Loop: Header=BB41_2 Depth=1
	ds_read_b32 v63, v57
	s_waitcnt lgkmcnt(0)
	v_cmp_ne_u32_e32 vcc, v63, v62
	s_and_b64 exec, exec, vcc
	s_cbranch_execz .LBB41_81
; %bb.80:                               ;   in Loop: Header=BB41_2 Depth=1
	ds_write_b32 v61, v19 offset:2560
	ds_read_b32 v62, v57
	s_waitcnt lgkmcnt(0)
	v_lshlrev_b32_e32 v62, 2, v62
	ds_write_b32 v62, v19 offset:3840
.LBB41_81:                              ;   in Loop: Header=BB41_2 Depth=1
	s_or_b64 exec, exec, s[34:35]
	s_waitcnt lgkmcnt(0)
	s_barrier
	s_and_saveexec_b64 s[34:35], s[22:23]
; %bb.82:                               ;   in Loop: Header=BB41_2 Depth=1
	ds_write_b32 v61, v4 offset:2560
; %bb.83:                               ;   in Loop: Header=BB41_2 Depth=1
	s_or_b64 exec, exec, s[34:35]
	s_waitcnt lgkmcnt(0)
	s_barrier
	s_and_saveexec_b64 s[34:35], s[0:1]
	s_cbranch_execz .LBB41_1
; %bb.84:                               ;   in Loop: Header=BB41_2 Depth=1
	ds_read2st64_b32 v[61:62], v39 offset0:10 offset1:15
	ds_read_b32 v63, v2
	s_waitcnt lgkmcnt(1)
	v_sub_u32_e32 v61, v62, v61
	s_waitcnt lgkmcnt(0)
	v_add_u32_e32 v61, v61, v63
	ds_write_b32 v2, v61
	s_branch .LBB41_1
.LBB41_85:
	s_and_saveexec_b64 s[2:3], s[0:1]
	s_cbranch_execz .LBB41_87
; %bb.86:
	v_mov_b32_e32 v4, 0
	ds_read_b32 v2, v2
	v_lshlrev_b64 v[0:1], 2, v[3:4]
	v_mov_b32_e32 v3, s39
	v_add_co_u32_e32 v0, vcc, s38, v0
	v_addc_co_u32_e32 v1, vcc, v3, v1, vcc
	s_waitcnt lgkmcnt(0)
	global_store_dword v[0:1], v2, off
.LBB41_87:
	s_endpgm
	.section	.rodata,"a",@progbits
	.p2align	6, 0x0
	.amdhsa_kernel _Z6kernelI9histogramILN6hipcub23BlockHistogramAlgorithmE1EEiLj320ELj16ELj320ELj100EEvPKT0_PS4_
		.amdhsa_group_segment_fixed_size 22400
		.amdhsa_private_segment_fixed_size 0
		.amdhsa_kernarg_size 272
		.amdhsa_user_sgpr_count 6
		.amdhsa_user_sgpr_private_segment_buffer 1
		.amdhsa_user_sgpr_dispatch_ptr 0
		.amdhsa_user_sgpr_queue_ptr 0
		.amdhsa_user_sgpr_kernarg_segment_ptr 1
		.amdhsa_user_sgpr_dispatch_id 0
		.amdhsa_user_sgpr_flat_scratch_init 0
		.amdhsa_user_sgpr_private_segment_size 0
		.amdhsa_uses_dynamic_stack 0
		.amdhsa_system_sgpr_private_segment_wavefront_offset 0
		.amdhsa_system_sgpr_workgroup_id_x 1
		.amdhsa_system_sgpr_workgroup_id_y 0
		.amdhsa_system_sgpr_workgroup_id_z 0
		.amdhsa_system_sgpr_workgroup_info 0
		.amdhsa_system_vgpr_workitem_id 2
		.amdhsa_next_free_vgpr 114
		.amdhsa_next_free_sgpr 98
		.amdhsa_reserve_vcc 1
		.amdhsa_reserve_flat_scratch 0
		.amdhsa_float_round_mode_32 0
		.amdhsa_float_round_mode_16_64 0
		.amdhsa_float_denorm_mode_32 3
		.amdhsa_float_denorm_mode_16_64 3
		.amdhsa_dx10_clamp 1
		.amdhsa_ieee_mode 1
		.amdhsa_fp16_overflow 0
		.amdhsa_exception_fp_ieee_invalid_op 0
		.amdhsa_exception_fp_denorm_src 0
		.amdhsa_exception_fp_ieee_div_zero 0
		.amdhsa_exception_fp_ieee_overflow 0
		.amdhsa_exception_fp_ieee_underflow 0
		.amdhsa_exception_fp_ieee_inexact 0
		.amdhsa_exception_int_div_zero 0
	.end_amdhsa_kernel
	.section	.text._Z6kernelI9histogramILN6hipcub23BlockHistogramAlgorithmE1EEiLj320ELj16ELj320ELj100EEvPKT0_PS4_,"axG",@progbits,_Z6kernelI9histogramILN6hipcub23BlockHistogramAlgorithmE1EEiLj320ELj16ELj320ELj100EEvPKT0_PS4_,comdat
.Lfunc_end41:
	.size	_Z6kernelI9histogramILN6hipcub23BlockHistogramAlgorithmE1EEiLj320ELj16ELj320ELj100EEvPKT0_PS4_, .Lfunc_end41-_Z6kernelI9histogramILN6hipcub23BlockHistogramAlgorithmE1EEiLj320ELj16ELj320ELj100EEvPKT0_PS4_
                                        ; -- End function
	.set _Z6kernelI9histogramILN6hipcub23BlockHistogramAlgorithmE1EEiLj320ELj16ELj320ELj100EEvPKT0_PS4_.num_vgpr, 114
	.set _Z6kernelI9histogramILN6hipcub23BlockHistogramAlgorithmE1EEiLj320ELj16ELj320ELj100EEvPKT0_PS4_.num_agpr, 0
	.set _Z6kernelI9histogramILN6hipcub23BlockHistogramAlgorithmE1EEiLj320ELj16ELj320ELj100EEvPKT0_PS4_.numbered_sgpr, 42
	.set _Z6kernelI9histogramILN6hipcub23BlockHistogramAlgorithmE1EEiLj320ELj16ELj320ELj100EEvPKT0_PS4_.num_named_barrier, 0
	.set _Z6kernelI9histogramILN6hipcub23BlockHistogramAlgorithmE1EEiLj320ELj16ELj320ELj100EEvPKT0_PS4_.private_seg_size, 0
	.set _Z6kernelI9histogramILN6hipcub23BlockHistogramAlgorithmE1EEiLj320ELj16ELj320ELj100EEvPKT0_PS4_.uses_vcc, 1
	.set _Z6kernelI9histogramILN6hipcub23BlockHistogramAlgorithmE1EEiLj320ELj16ELj320ELj100EEvPKT0_PS4_.uses_flat_scratch, 0
	.set _Z6kernelI9histogramILN6hipcub23BlockHistogramAlgorithmE1EEiLj320ELj16ELj320ELj100EEvPKT0_PS4_.has_dyn_sized_stack, 0
	.set _Z6kernelI9histogramILN6hipcub23BlockHistogramAlgorithmE1EEiLj320ELj16ELj320ELj100EEvPKT0_PS4_.has_recursion, 0
	.set _Z6kernelI9histogramILN6hipcub23BlockHistogramAlgorithmE1EEiLj320ELj16ELj320ELj100EEvPKT0_PS4_.has_indirect_call, 0
	.section	.AMDGPU.csdata,"",@progbits
; Kernel info:
; codeLenInByte = 10072
; TotalNumSgprs: 46
; NumVgprs: 114
; ScratchSize: 0
; MemoryBound: 0
; FloatMode: 240
; IeeeMode: 1
; LDSByteSize: 22400 bytes/workgroup (compile time only)
; SGPRBlocks: 12
; VGPRBlocks: 28
; NumSGPRsForWavesPerEU: 102
; NumVGPRsForWavesPerEU: 114
; Occupancy: 2
; WaveLimiterHint : 0
; COMPUTE_PGM_RSRC2:SCRATCH_EN: 0
; COMPUTE_PGM_RSRC2:USER_SGPR: 6
; COMPUTE_PGM_RSRC2:TRAP_HANDLER: 0
; COMPUTE_PGM_RSRC2:TGID_X_EN: 1
; COMPUTE_PGM_RSRC2:TGID_Y_EN: 0
; COMPUTE_PGM_RSRC2:TGID_Z_EN: 0
; COMPUTE_PGM_RSRC2:TIDIG_COMP_CNT: 2
	.section	.text._Z6kernelI9histogramILN6hipcub23BlockHistogramAlgorithmE1EEiLj512ELj1ELj512ELj100EEvPKT0_PS4_,"axG",@progbits,_Z6kernelI9histogramILN6hipcub23BlockHistogramAlgorithmE1EEiLj512ELj1ELj512ELj100EEvPKT0_PS4_,comdat
	.protected	_Z6kernelI9histogramILN6hipcub23BlockHistogramAlgorithmE1EEiLj512ELj1ELj512ELj100EEvPKT0_PS4_ ; -- Begin function _Z6kernelI9histogramILN6hipcub23BlockHistogramAlgorithmE1EEiLj512ELj1ELj512ELj100EEvPKT0_PS4_
	.globl	_Z6kernelI9histogramILN6hipcub23BlockHistogramAlgorithmE1EEiLj512ELj1ELj512ELj100EEvPKT0_PS4_
	.p2align	8
	.type	_Z6kernelI9histogramILN6hipcub23BlockHistogramAlgorithmE1EEiLj512ELj1ELj512ELj100EEvPKT0_PS4_,@function
_Z6kernelI9histogramILN6hipcub23BlockHistogramAlgorithmE1EEiLj512ELj1ELj512ELj100EEvPKT0_PS4_: ; @_Z6kernelI9histogramILN6hipcub23BlockHistogramAlgorithmE1EEiLj512ELj1ELj512ELj100EEvPKT0_PS4_
; %bb.0:
	s_load_dwordx4 s[36:39], s[4:5], 0x0
	s_load_dword s34, s[4:5], 0x1c
	s_lshl_b32 s0, s6, 9
	v_mov_b32_e32 v7, 0
	v_or_b32_e32 v5, s0, v0
	v_mov_b32_e32 v6, v7
	v_lshlrev_b64 v[3:4], 2, v[5:6]
	s_waitcnt lgkmcnt(0)
	v_mov_b32_e32 v6, s37
	v_add_co_u32_e32 v3, vcc, s36, v3
	v_addc_co_u32_e32 v4, vcc, v6, v4, vcc
	global_load_dword v3, v[3:4], off
	v_mbcnt_lo_u32_b32 v4, -1, 0
	v_mbcnt_hi_u32_b32 v4, -1, v4
	v_mov_b32_e32 v8, 0x2020
	v_subrev_co_u32_e64 v26, s[8:9], 1, v4
	v_and_b32_e32 v27, 64, v4
	v_lshl_add_u32 v20, v0, 2, v8
	v_and_b32_e32 v8, 15, v4
	v_cmp_lt_i32_e64 s[30:31], v26, v27
	v_cmp_eq_u32_e64 s[12:13], 0, v8
	v_cmp_lt_u32_e64 s[14:15], 1, v8
	v_cmp_lt_u32_e64 s[16:17], 3, v8
	;; [unrolled: 1-line block ×3, first 2 shown]
	v_cndmask_b32_e64 v8, v26, v4, s[30:31]
	s_lshr_b32 s30, s34, 16
	s_and_b32 s31, s34, 0xffff
	v_mad_u32_u24 v1, v2, s30, v1
	v_mad_u64_u32 v[1:2], s[30:31], v1, s31, v[0:1]
	s_mov_b32 s36, 0
	v_and_b32_e32 v9, 0x1c0, v0
	v_lshrrev_b32_e32 v10, 4, v0
	s_mov_b32 s40, s36
	v_lshlrev_b32_e32 v23, 4, v0
	v_and_b32_e32 v11, 16, v4
	v_or_b32_e32 v12, 63, v9
	s_movk_i32 s0, 0x200
	s_mov_b32 s37, s36
	s_mov_b32 s41, s36
	v_and_b32_e32 v28, 7, v4
	v_lshlrev_b32_e32 v29, 2, v9
	v_and_b32_e32 v24, 28, v10
	v_mad_i32_i24 v25, v0, -12, v23
	v_mov_b32_e32 v9, s36
	v_cmp_eq_u32_e64 s[20:21], 0, v11
	v_cmp_eq_u32_e64 s[22:23], v0, v12
	v_lshrrev_b32_e32 v1, 4, v1
	v_mov_b32_e32 v11, s40
	s_movk_i32 s33, 0x64
	s_movk_i32 s42, 0xff
	v_mov_b32_e32 v6, 0x200
	v_mov_b32_e32 v13, 5
	;; [unrolled: 1-line block ×10, first 2 shown]
	v_cmp_gt_u32_e32 vcc, s0, v0
	v_cmp_gt_u32_e64 s[0:1], 8, v0
	v_cmp_lt_u32_e64 s[2:3], 63, v0
	v_cmp_eq_u32_e64 s[4:5], 0, v0
	v_cmp_ne_u32_e64 s[6:7], 0, v0
	v_cmp_lt_u32_e64 s[10:11], 31, v4
	v_mov_b32_e32 v10, s37
	v_cmp_eq_u32_e64 s[24:25], 0, v28
	v_cmp_lt_u32_e64 s[26:27], 1, v28
	v_cmp_lt_u32_e64 s[28:29], 3, v28
	v_lshl_add_u32 v26, v4, 2, v29
	v_add_u32_e32 v27, -4, v24
	v_add_u32_e32 v28, -4, v25
	v_lshlrev_b32_e32 v29, 2, v8
	v_and_b32_e32 v30, 0xffffffc, v1
	v_mov_b32_e32 v12, s41
	s_waitcnt vmcnt(0)
	v_xor_b32_e32 v31, 0x80000000, v3
	s_branch .LBB42_2
.LBB42_1:                               ;   in Loop: Header=BB42_2 Depth=1
	s_or_b64 exec, exec, s[30:31]
	s_add_i32 s33, s33, -1
	s_cmp_eq_u32 s33, 0
	s_cbranch_scc1 .LBB42_45
.LBB42_2:                               ; =>This Inner Loop Header: Depth=1
	s_and_saveexec_b64 s[30:31], vcc
; %bb.3:                                ;   in Loop: Header=BB42_2 Depth=1
	ds_write_b32 v20, v7
; %bb.4:                                ;   in Loop: Header=BB42_2 Depth=1
	s_or_b64 exec, exec, s[30:31]
	v_and_b32_e32 v1, 1, v31
	v_add_co_u32_e64 v2, s[30:31], -1, v1
	v_addc_co_u32_e64 v4, s[30:31], 0, -1, s[30:31]
	v_cmp_ne_u32_e64 s[30:31], 0, v1
	v_lshlrev_b32_e32 v8, 30, v31
	v_xor_b32_e32 v1, s31, v4
	v_xor_b32_e32 v2, s30, v2
	v_cmp_gt_i64_e64 s[30:31], 0, v[7:8]
	v_not_b32_e32 v4, v8
	v_ashrrev_i32_e32 v4, 31, v4
	v_and_b32_e32 v1, exec_hi, v1
	v_xor_b32_e32 v8, s31, v4
	v_and_b32_e32 v2, exec_lo, v2
	v_xor_b32_e32 v4, s30, v4
	v_and_b32_e32 v1, v1, v8
	v_lshlrev_b32_e32 v8, 29, v31
	v_and_b32_e32 v2, v2, v4
	v_cmp_gt_i64_e64 s[30:31], 0, v[7:8]
	v_not_b32_e32 v4, v8
	v_ashrrev_i32_e32 v4, 31, v4
	v_xor_b32_e32 v8, s31, v4
	v_xor_b32_e32 v4, s30, v4
	v_and_b32_e32 v1, v1, v8
	v_lshlrev_b32_e32 v8, 28, v31
	v_and_b32_e32 v2, v2, v4
	v_cmp_gt_i64_e64 s[30:31], 0, v[7:8]
	v_not_b32_e32 v4, v8
	v_ashrrev_i32_e32 v4, 31, v4
	v_xor_b32_e32 v8, s31, v4
	;; [unrolled: 8-line block ×6, first 2 shown]
	v_xor_b32_e32 v32, s30, v2
	v_and_b32_e32 v2, v1, v8
	v_and_b32_e32 v1, v4, v32
	v_mbcnt_lo_u32_b32 v4, v1, 0
	v_mbcnt_hi_u32_b32 v8, v2, v4
	v_cmp_ne_u64_e64 s[30:31], 0, v[1:2]
	v_lshlrev_b32_sdwa v3, v13, v31 dst_sel:DWORD dst_unused:UNUSED_PAD src0_sel:DWORD src1_sel:BYTE_0
	v_cmp_eq_u32_e64 s[34:35], 0, v8
	s_and_b64 s[34:35], s[30:31], s[34:35]
	v_add_u32_e32 v32, v30, v3
	s_waitcnt lgkmcnt(0)
	s_barrier
	ds_write2_b64 v23, v[9:10], v[11:12] offset0:4 offset1:5
	s_waitcnt lgkmcnt(0)
	s_barrier
	; wave barrier
	s_and_saveexec_b64 s[30:31], s[34:35]
; %bb.5:                                ;   in Loop: Header=BB42_2 Depth=1
	v_bcnt_u32_b32 v1, v1, 0
	v_bcnt_u32_b32 v1, v2, v1
	ds_write_b32 v32, v1 offset:32
; %bb.6:                                ;   in Loop: Header=BB42_2 Depth=1
	s_or_b64 exec, exec, s[30:31]
	; wave barrier
	s_waitcnt lgkmcnt(0)
	s_barrier
	ds_read2_b64 v[1:4], v23 offset0:4 offset1:5
	s_waitcnt lgkmcnt(0)
	v_add_u32_e32 v33, v2, v1
	v_add3_u32 v4, v33, v3, v4
	s_nop 1
	v_mov_b32_dpp v33, v4 row_shr:1 row_mask:0xf bank_mask:0xf
	v_cndmask_b32_e64 v33, v33, 0, s[12:13]
	v_add_u32_e32 v4, v33, v4
	s_nop 1
	v_mov_b32_dpp v33, v4 row_shr:2 row_mask:0xf bank_mask:0xf
	v_cndmask_b32_e64 v33, 0, v33, s[14:15]
	v_add_u32_e32 v4, v4, v33
	;; [unrolled: 4-line block ×4, first 2 shown]
	s_nop 1
	v_mov_b32_dpp v33, v4 row_bcast:15 row_mask:0xf bank_mask:0xf
	v_cndmask_b32_e64 v33, v33, 0, s[20:21]
	v_add_u32_e32 v4, v4, v33
	s_nop 1
	v_mov_b32_dpp v33, v4 row_bcast:31 row_mask:0xf bank_mask:0xf
	v_cndmask_b32_e64 v33, 0, v33, s[10:11]
	v_add_u32_e32 v4, v4, v33
	s_and_saveexec_b64 s[30:31], s[22:23]
; %bb.7:                                ;   in Loop: Header=BB42_2 Depth=1
	ds_write_b32 v24, v4
; %bb.8:                                ;   in Loop: Header=BB42_2 Depth=1
	s_or_b64 exec, exec, s[30:31]
	s_waitcnt lgkmcnt(0)
	s_barrier
	s_and_saveexec_b64 s[30:31], s[0:1]
	s_cbranch_execz .LBB42_10
; %bb.9:                                ;   in Loop: Header=BB42_2 Depth=1
	ds_read_b32 v33, v25
	s_waitcnt lgkmcnt(0)
	s_nop 0
	v_mov_b32_dpp v34, v33 row_shr:1 row_mask:0xf bank_mask:0xf
	v_cndmask_b32_e64 v34, v34, 0, s[24:25]
	v_add_u32_e32 v33, v34, v33
	s_nop 1
	v_mov_b32_dpp v34, v33 row_shr:2 row_mask:0xf bank_mask:0xf
	v_cndmask_b32_e64 v34, 0, v34, s[26:27]
	v_add_u32_e32 v33, v33, v34
	;; [unrolled: 4-line block ×3, first 2 shown]
	ds_write_b32 v25, v33
.LBB42_10:                              ;   in Loop: Header=BB42_2 Depth=1
	s_or_b64 exec, exec, s[30:31]
	v_mov_b32_e32 v33, 0
	s_waitcnt lgkmcnt(0)
	s_barrier
	s_and_saveexec_b64 s[30:31], s[2:3]
; %bb.11:                               ;   in Loop: Header=BB42_2 Depth=1
	ds_read_b32 v33, v27
; %bb.12:                               ;   in Loop: Header=BB42_2 Depth=1
	s_or_b64 exec, exec, s[30:31]
	s_waitcnt lgkmcnt(0)
	v_add_u32_e32 v4, v33, v4
	ds_bpermute_b32 v4, v29, v4
	s_waitcnt lgkmcnt(0)
	v_cndmask_b32_e64 v4, v4, v33, s[8:9]
	v_cndmask_b32_e64 v33, v4, 0, s[4:5]
	v_add_u32_e32 v34, v33, v1
	v_add_u32_e32 v1, v34, v2
	;; [unrolled: 1-line block ×3, first 2 shown]
	ds_write2_b64 v23, v[33:34], v[1:2] offset0:4 offset1:5
	s_waitcnt lgkmcnt(0)
	s_barrier
	ds_read_b32 v1, v32 offset:32
	v_lshlrev_b32_e32 v2, 2, v8
	s_waitcnt lgkmcnt(0)
	s_barrier
	v_lshl_add_u32 v1, v1, 2, v2
	ds_write_b32 v1, v31
	s_waitcnt lgkmcnt(0)
	s_barrier
	ds_read_b32 v31, v26
	s_waitcnt lgkmcnt(0)
	s_barrier
	ds_write2_b64 v23, v[9:10], v[11:12] offset0:4 offset1:5
	v_lshrrev_b32_e32 v1, 8, v31
	v_and_b32_e32 v2, 1, v1
	v_add_co_u32_e64 v4, s[30:31], -1, v2
	v_addc_co_u32_e64 v8, s[30:31], 0, -1, s[30:31]
	v_cmp_ne_u32_e64 s[30:31], 0, v2
	v_xor_b32_e32 v2, s31, v8
	v_lshlrev_b32_e32 v8, 30, v1
	v_xor_b32_e32 v4, s30, v4
	v_cmp_gt_i64_e64 s[30:31], 0, v[7:8]
	v_not_b32_e32 v8, v8
	v_ashrrev_i32_e32 v8, 31, v8
	v_and_b32_e32 v4, exec_lo, v4
	v_xor_b32_e32 v32, s31, v8
	v_xor_b32_e32 v8, s30, v8
	v_and_b32_e32 v4, v4, v8
	v_lshlrev_b32_e32 v8, 29, v1
	v_cmp_gt_i64_e64 s[30:31], 0, v[7:8]
	v_not_b32_e32 v8, v8
	v_and_b32_e32 v2, exec_hi, v2
	v_ashrrev_i32_e32 v8, 31, v8
	v_and_b32_e32 v2, v2, v32
	v_xor_b32_e32 v32, s31, v8
	v_xor_b32_e32 v8, s30, v8
	v_and_b32_e32 v4, v4, v8
	v_lshlrev_b32_e32 v8, 28, v1
	v_cmp_gt_i64_e64 s[30:31], 0, v[7:8]
	v_not_b32_e32 v8, v8
	v_ashrrev_i32_e32 v8, 31, v8
	v_and_b32_e32 v2, v2, v32
	v_xor_b32_e32 v32, s31, v8
	v_xor_b32_e32 v8, s30, v8
	v_and_b32_e32 v4, v4, v8
	v_lshlrev_b32_e32 v8, 27, v1
	v_cmp_gt_i64_e64 s[30:31], 0, v[7:8]
	v_not_b32_e32 v8, v8
	;; [unrolled: 8-line block ×4, first 2 shown]
	v_ashrrev_i32_e32 v8, 31, v8
	v_and_b32_e32 v2, v2, v32
	v_xor_b32_e32 v32, s31, v8
	v_xor_b32_e32 v8, s30, v8
	v_and_b32_e32 v4, v4, v8
	v_lshlrev_b32_e32 v8, 24, v1
	v_lshlrev_b32_sdwa v3, v13, v1 dst_sel:DWORD dst_unused:UNUSED_PAD src0_sel:DWORD src1_sel:BYTE_0
	v_cmp_gt_i64_e64 s[30:31], 0, v[7:8]
	v_not_b32_e32 v1, v8
	v_ashrrev_i32_e32 v1, 31, v1
	v_xor_b32_e32 v8, s31, v1
	v_xor_b32_e32 v1, s30, v1
	v_and_b32_e32 v2, v2, v32
	v_and_b32_e32 v1, v4, v1
	;; [unrolled: 1-line block ×3, first 2 shown]
	v_mbcnt_lo_u32_b32 v4, v1, 0
	v_mbcnt_hi_u32_b32 v8, v2, v4
	v_cmp_ne_u64_e64 s[30:31], 0, v[1:2]
	v_cmp_eq_u32_e64 s[34:35], 0, v8
	s_and_b64 s[34:35], s[30:31], s[34:35]
	v_add_u32_e32 v32, v30, v3
	s_waitcnt lgkmcnt(0)
	s_barrier
	; wave barrier
	s_and_saveexec_b64 s[30:31], s[34:35]
; %bb.13:                               ;   in Loop: Header=BB42_2 Depth=1
	v_bcnt_u32_b32 v1, v1, 0
	v_bcnt_u32_b32 v1, v2, v1
	ds_write_b32 v32, v1 offset:32
; %bb.14:                               ;   in Loop: Header=BB42_2 Depth=1
	s_or_b64 exec, exec, s[30:31]
	; wave barrier
	s_waitcnt lgkmcnt(0)
	s_barrier
	ds_read2_b64 v[1:4], v23 offset0:4 offset1:5
	s_waitcnt lgkmcnt(0)
	v_add_u32_e32 v33, v2, v1
	v_add3_u32 v4, v33, v3, v4
	s_nop 1
	v_mov_b32_dpp v33, v4 row_shr:1 row_mask:0xf bank_mask:0xf
	v_cndmask_b32_e64 v33, v33, 0, s[12:13]
	v_add_u32_e32 v4, v33, v4
	s_nop 1
	v_mov_b32_dpp v33, v4 row_shr:2 row_mask:0xf bank_mask:0xf
	v_cndmask_b32_e64 v33, 0, v33, s[14:15]
	v_add_u32_e32 v4, v4, v33
	;; [unrolled: 4-line block ×4, first 2 shown]
	s_nop 1
	v_mov_b32_dpp v33, v4 row_bcast:15 row_mask:0xf bank_mask:0xf
	v_cndmask_b32_e64 v33, v33, 0, s[20:21]
	v_add_u32_e32 v4, v4, v33
	s_nop 1
	v_mov_b32_dpp v33, v4 row_bcast:31 row_mask:0xf bank_mask:0xf
	v_cndmask_b32_e64 v33, 0, v33, s[10:11]
	v_add_u32_e32 v4, v4, v33
	s_and_saveexec_b64 s[30:31], s[22:23]
; %bb.15:                               ;   in Loop: Header=BB42_2 Depth=1
	ds_write_b32 v24, v4
; %bb.16:                               ;   in Loop: Header=BB42_2 Depth=1
	s_or_b64 exec, exec, s[30:31]
	s_waitcnt lgkmcnt(0)
	s_barrier
	s_and_saveexec_b64 s[30:31], s[0:1]
	s_cbranch_execz .LBB42_18
; %bb.17:                               ;   in Loop: Header=BB42_2 Depth=1
	ds_read_b32 v33, v25
	s_waitcnt lgkmcnt(0)
	s_nop 0
	v_mov_b32_dpp v34, v33 row_shr:1 row_mask:0xf bank_mask:0xf
	v_cndmask_b32_e64 v34, v34, 0, s[24:25]
	v_add_u32_e32 v33, v34, v33
	s_nop 1
	v_mov_b32_dpp v34, v33 row_shr:2 row_mask:0xf bank_mask:0xf
	v_cndmask_b32_e64 v34, 0, v34, s[26:27]
	v_add_u32_e32 v33, v33, v34
	;; [unrolled: 4-line block ×3, first 2 shown]
	ds_write_b32 v25, v33
.LBB42_18:                              ;   in Loop: Header=BB42_2 Depth=1
	s_or_b64 exec, exec, s[30:31]
	v_mov_b32_e32 v33, 0
	s_waitcnt lgkmcnt(0)
	s_barrier
	s_and_saveexec_b64 s[30:31], s[2:3]
; %bb.19:                               ;   in Loop: Header=BB42_2 Depth=1
	ds_read_b32 v33, v27
; %bb.20:                               ;   in Loop: Header=BB42_2 Depth=1
	s_or_b64 exec, exec, s[30:31]
	s_waitcnt lgkmcnt(0)
	v_add_u32_e32 v4, v33, v4
	ds_bpermute_b32 v4, v29, v4
	s_waitcnt lgkmcnt(0)
	v_cndmask_b32_e64 v4, v4, v33, s[8:9]
	v_cndmask_b32_e64 v33, v4, 0, s[4:5]
	v_add_u32_e32 v34, v33, v1
	v_add_u32_e32 v1, v34, v2
	;; [unrolled: 1-line block ×3, first 2 shown]
	ds_write2_b64 v23, v[33:34], v[1:2] offset0:4 offset1:5
	s_waitcnt lgkmcnt(0)
	s_barrier
	ds_read_b32 v1, v32 offset:32
	v_lshlrev_b32_e32 v2, 2, v8
	s_waitcnt lgkmcnt(0)
	s_barrier
	v_lshl_add_u32 v1, v1, 2, v2
	ds_write_b32 v1, v31
	s_waitcnt lgkmcnt(0)
	s_barrier
	ds_read_b32 v31, v26
	s_waitcnt lgkmcnt(0)
	s_barrier
	ds_write2_b64 v23, v[9:10], v[11:12] offset0:4 offset1:5
	v_and_b32_sdwa v1, v31, s42 dst_sel:DWORD dst_unused:UNUSED_PAD src0_sel:WORD_1 src1_sel:DWORD
	v_lshlrev_b32_e32 v3, 5, v1
	v_and_b32_sdwa v1, v31, v14 dst_sel:DWORD dst_unused:UNUSED_PAD src0_sel:WORD_1 src1_sel:DWORD
	v_add_co_u32_e64 v2, s[30:31], -1, v1
	v_addc_co_u32_e64 v4, s[30:31], 0, -1, s[30:31]
	v_cmp_ne_u32_e64 s[30:31], 0, v1
	v_lshlrev_b32_sdwa v8, v15, v31 dst_sel:DWORD dst_unused:UNUSED_PAD src0_sel:DWORD src1_sel:WORD_1
	v_xor_b32_e32 v1, s31, v4
	v_xor_b32_e32 v2, s30, v2
	v_cmp_gt_i64_e64 s[30:31], 0, v[7:8]
	v_not_b32_e32 v4, v8
	v_ashrrev_i32_e32 v4, 31, v4
	v_and_b32_e32 v1, exec_hi, v1
	v_xor_b32_e32 v8, s31, v4
	v_and_b32_e32 v2, exec_lo, v2
	v_xor_b32_e32 v4, s30, v4
	v_and_b32_e32 v1, v1, v8
	v_lshlrev_b32_sdwa v8, v16, v31 dst_sel:DWORD dst_unused:UNUSED_PAD src0_sel:DWORD src1_sel:WORD_1
	v_and_b32_e32 v2, v2, v4
	v_cmp_gt_i64_e64 s[30:31], 0, v[7:8]
	v_not_b32_e32 v4, v8
	v_ashrrev_i32_e32 v4, 31, v4
	v_xor_b32_e32 v8, s31, v4
	v_xor_b32_e32 v4, s30, v4
	v_and_b32_e32 v1, v1, v8
	v_lshlrev_b32_sdwa v8, v17, v31 dst_sel:DWORD dst_unused:UNUSED_PAD src0_sel:DWORD src1_sel:WORD_1
	v_and_b32_e32 v2, v2, v4
	v_cmp_gt_i64_e64 s[30:31], 0, v[7:8]
	v_not_b32_e32 v4, v8
	v_ashrrev_i32_e32 v4, 31, v4
	v_xor_b32_e32 v8, s31, v4
	;; [unrolled: 8-line block ×6, first 2 shown]
	v_xor_b32_e32 v32, s30, v2
	v_and_b32_e32 v2, v1, v8
	v_and_b32_e32 v1, v4, v32
	v_mbcnt_lo_u32_b32 v4, v1, 0
	v_mbcnt_hi_u32_b32 v8, v2, v4
	v_cmp_ne_u64_e64 s[30:31], 0, v[1:2]
	v_cmp_eq_u32_e64 s[34:35], 0, v8
	s_and_b64 s[34:35], s[30:31], s[34:35]
	v_add_u32_e32 v32, v30, v3
	s_waitcnt lgkmcnt(0)
	s_barrier
	; wave barrier
	s_and_saveexec_b64 s[30:31], s[34:35]
; %bb.21:                               ;   in Loop: Header=BB42_2 Depth=1
	v_bcnt_u32_b32 v1, v1, 0
	v_bcnt_u32_b32 v1, v2, v1
	ds_write_b32 v32, v1 offset:32
; %bb.22:                               ;   in Loop: Header=BB42_2 Depth=1
	s_or_b64 exec, exec, s[30:31]
	; wave barrier
	s_waitcnt lgkmcnt(0)
	s_barrier
	ds_read2_b64 v[1:4], v23 offset0:4 offset1:5
	s_waitcnt lgkmcnt(0)
	v_add_u32_e32 v33, v2, v1
	v_add3_u32 v4, v33, v3, v4
	s_nop 1
	v_mov_b32_dpp v33, v4 row_shr:1 row_mask:0xf bank_mask:0xf
	v_cndmask_b32_e64 v33, v33, 0, s[12:13]
	v_add_u32_e32 v4, v33, v4
	s_nop 1
	v_mov_b32_dpp v33, v4 row_shr:2 row_mask:0xf bank_mask:0xf
	v_cndmask_b32_e64 v33, 0, v33, s[14:15]
	v_add_u32_e32 v4, v4, v33
	;; [unrolled: 4-line block ×4, first 2 shown]
	s_nop 1
	v_mov_b32_dpp v33, v4 row_bcast:15 row_mask:0xf bank_mask:0xf
	v_cndmask_b32_e64 v33, v33, 0, s[20:21]
	v_add_u32_e32 v4, v4, v33
	s_nop 1
	v_mov_b32_dpp v33, v4 row_bcast:31 row_mask:0xf bank_mask:0xf
	v_cndmask_b32_e64 v33, 0, v33, s[10:11]
	v_add_u32_e32 v4, v4, v33
	s_and_saveexec_b64 s[30:31], s[22:23]
; %bb.23:                               ;   in Loop: Header=BB42_2 Depth=1
	ds_write_b32 v24, v4
; %bb.24:                               ;   in Loop: Header=BB42_2 Depth=1
	s_or_b64 exec, exec, s[30:31]
	s_waitcnt lgkmcnt(0)
	s_barrier
	s_and_saveexec_b64 s[30:31], s[0:1]
	s_cbranch_execz .LBB42_26
; %bb.25:                               ;   in Loop: Header=BB42_2 Depth=1
	ds_read_b32 v33, v25
	s_waitcnt lgkmcnt(0)
	s_nop 0
	v_mov_b32_dpp v34, v33 row_shr:1 row_mask:0xf bank_mask:0xf
	v_cndmask_b32_e64 v34, v34, 0, s[24:25]
	v_add_u32_e32 v33, v34, v33
	s_nop 1
	v_mov_b32_dpp v34, v33 row_shr:2 row_mask:0xf bank_mask:0xf
	v_cndmask_b32_e64 v34, 0, v34, s[26:27]
	v_add_u32_e32 v33, v33, v34
	;; [unrolled: 4-line block ×3, first 2 shown]
	ds_write_b32 v25, v33
.LBB42_26:                              ;   in Loop: Header=BB42_2 Depth=1
	s_or_b64 exec, exec, s[30:31]
	v_mov_b32_e32 v33, 0
	s_waitcnt lgkmcnt(0)
	s_barrier
	s_and_saveexec_b64 s[30:31], s[2:3]
; %bb.27:                               ;   in Loop: Header=BB42_2 Depth=1
	ds_read_b32 v33, v27
; %bb.28:                               ;   in Loop: Header=BB42_2 Depth=1
	s_or_b64 exec, exec, s[30:31]
	s_waitcnt lgkmcnt(0)
	v_add_u32_e32 v4, v33, v4
	ds_bpermute_b32 v4, v29, v4
	s_waitcnt lgkmcnt(0)
	v_cndmask_b32_e64 v4, v4, v33, s[8:9]
	v_cndmask_b32_e64 v33, v4, 0, s[4:5]
	v_add_u32_e32 v34, v33, v1
	v_add_u32_e32 v1, v34, v2
	;; [unrolled: 1-line block ×3, first 2 shown]
	ds_write2_b64 v23, v[33:34], v[1:2] offset0:4 offset1:5
	s_waitcnt lgkmcnt(0)
	s_barrier
	ds_read_b32 v1, v32 offset:32
	v_lshlrev_b32_e32 v2, 2, v8
	s_waitcnt lgkmcnt(0)
	s_barrier
	v_lshl_add_u32 v1, v1, 2, v2
	ds_write_b32 v1, v31
	s_waitcnt lgkmcnt(0)
	s_barrier
	ds_read_b32 v31, v26
	v_mov_b32_e32 v1, s36
	v_mov_b32_e32 v3, s40
	;; [unrolled: 1-line block ×4, first 2 shown]
	s_waitcnt lgkmcnt(0)
	s_barrier
	ds_write2_b64 v23, v[1:2], v[3:4] offset0:4 offset1:5
	v_and_b32_sdwa v1, v31, v14 dst_sel:DWORD dst_unused:UNUSED_PAD src0_sel:BYTE_3 src1_sel:DWORD
	v_add_co_u32_e64 v2, s[30:31], -1, v1
	v_addc_co_u32_e64 v4, s[30:31], 0, -1, s[30:31]
	v_cmp_ne_u32_e64 s[30:31], 0, v1
	v_lshlrev_b32_sdwa v8, v15, v31 dst_sel:DWORD dst_unused:UNUSED_PAD src0_sel:DWORD src1_sel:BYTE_3
	v_xor_b32_e32 v1, s31, v4
	v_xor_b32_e32 v2, s30, v2
	v_cmp_gt_i64_e64 s[30:31], 0, v[7:8]
	v_not_b32_e32 v4, v8
	v_ashrrev_i32_e32 v4, 31, v4
	v_and_b32_e32 v1, exec_hi, v1
	v_xor_b32_e32 v8, s31, v4
	v_and_b32_e32 v2, exec_lo, v2
	v_xor_b32_e32 v4, s30, v4
	v_and_b32_e32 v1, v1, v8
	v_lshlrev_b32_sdwa v8, v16, v31 dst_sel:DWORD dst_unused:UNUSED_PAD src0_sel:DWORD src1_sel:BYTE_3
	v_and_b32_e32 v2, v2, v4
	v_cmp_gt_i64_e64 s[30:31], 0, v[7:8]
	v_not_b32_e32 v4, v8
	v_ashrrev_i32_e32 v4, 31, v4
	v_xor_b32_e32 v8, s31, v4
	v_xor_b32_e32 v4, s30, v4
	v_and_b32_e32 v1, v1, v8
	v_lshlrev_b32_sdwa v8, v17, v31 dst_sel:DWORD dst_unused:UNUSED_PAD src0_sel:DWORD src1_sel:BYTE_3
	v_and_b32_e32 v2, v2, v4
	v_cmp_gt_i64_e64 s[30:31], 0, v[7:8]
	v_not_b32_e32 v4, v8
	v_ashrrev_i32_e32 v4, 31, v4
	v_xor_b32_e32 v8, s31, v4
	;; [unrolled: 8-line block ×6, first 2 shown]
	v_xor_b32_e32 v32, s30, v2
	v_and_b32_e32 v2, v1, v8
	v_and_b32_e32 v1, v4, v32
	v_mbcnt_lo_u32_b32 v4, v1, 0
	v_mbcnt_hi_u32_b32 v8, v2, v4
	v_cmp_ne_u64_e64 s[30:31], 0, v[1:2]
	v_lshlrev_b32_sdwa v3, v13, v31 dst_sel:DWORD dst_unused:UNUSED_PAD src0_sel:DWORD src1_sel:BYTE_3
	v_cmp_eq_u32_e64 s[34:35], 0, v8
	s_and_b64 s[34:35], s[30:31], s[34:35]
	v_add_u32_e32 v32, v30, v3
	s_waitcnt lgkmcnt(0)
	s_barrier
	; wave barrier
	s_and_saveexec_b64 s[30:31], s[34:35]
; %bb.29:                               ;   in Loop: Header=BB42_2 Depth=1
	v_bcnt_u32_b32 v1, v1, 0
	v_bcnt_u32_b32 v1, v2, v1
	ds_write_b32 v32, v1 offset:32
; %bb.30:                               ;   in Loop: Header=BB42_2 Depth=1
	s_or_b64 exec, exec, s[30:31]
	; wave barrier
	s_waitcnt lgkmcnt(0)
	s_barrier
	ds_read2_b64 v[1:4], v23 offset0:4 offset1:5
	s_waitcnt lgkmcnt(0)
	v_add_u32_e32 v33, v2, v1
	v_add3_u32 v4, v33, v3, v4
	s_nop 1
	v_mov_b32_dpp v33, v4 row_shr:1 row_mask:0xf bank_mask:0xf
	v_cndmask_b32_e64 v33, v33, 0, s[12:13]
	v_add_u32_e32 v4, v33, v4
	s_nop 1
	v_mov_b32_dpp v33, v4 row_shr:2 row_mask:0xf bank_mask:0xf
	v_cndmask_b32_e64 v33, 0, v33, s[14:15]
	v_add_u32_e32 v4, v4, v33
	s_nop 1
	v_mov_b32_dpp v33, v4 row_shr:4 row_mask:0xf bank_mask:0xf
	v_cndmask_b32_e64 v33, 0, v33, s[16:17]
	v_add_u32_e32 v4, v4, v33
	s_nop 1
	v_mov_b32_dpp v33, v4 row_shr:8 row_mask:0xf bank_mask:0xf
	v_cndmask_b32_e64 v33, 0, v33, s[18:19]
	v_add_u32_e32 v4, v4, v33
	s_nop 1
	v_mov_b32_dpp v33, v4 row_bcast:15 row_mask:0xf bank_mask:0xf
	v_cndmask_b32_e64 v33, v33, 0, s[20:21]
	v_add_u32_e32 v4, v4, v33
	s_nop 1
	v_mov_b32_dpp v33, v4 row_bcast:31 row_mask:0xf bank_mask:0xf
	v_cndmask_b32_e64 v33, 0, v33, s[10:11]
	v_add_u32_e32 v4, v4, v33
	s_and_saveexec_b64 s[30:31], s[22:23]
; %bb.31:                               ;   in Loop: Header=BB42_2 Depth=1
	ds_write_b32 v24, v4
; %bb.32:                               ;   in Loop: Header=BB42_2 Depth=1
	s_or_b64 exec, exec, s[30:31]
	s_waitcnt lgkmcnt(0)
	s_barrier
	s_and_saveexec_b64 s[30:31], s[0:1]
	s_cbranch_execz .LBB42_34
; %bb.33:                               ;   in Loop: Header=BB42_2 Depth=1
	ds_read_b32 v33, v25
	s_waitcnt lgkmcnt(0)
	s_nop 0
	v_mov_b32_dpp v34, v33 row_shr:1 row_mask:0xf bank_mask:0xf
	v_cndmask_b32_e64 v34, v34, 0, s[24:25]
	v_add_u32_e32 v33, v34, v33
	s_nop 1
	v_mov_b32_dpp v34, v33 row_shr:2 row_mask:0xf bank_mask:0xf
	v_cndmask_b32_e64 v34, 0, v34, s[26:27]
	v_add_u32_e32 v33, v33, v34
	;; [unrolled: 4-line block ×3, first 2 shown]
	ds_write_b32 v25, v33
.LBB42_34:                              ;   in Loop: Header=BB42_2 Depth=1
	s_or_b64 exec, exec, s[30:31]
	v_mov_b32_e32 v33, 0
	s_waitcnt lgkmcnt(0)
	s_barrier
	s_and_saveexec_b64 s[30:31], s[2:3]
; %bb.35:                               ;   in Loop: Header=BB42_2 Depth=1
	ds_read_b32 v33, v27
; %bb.36:                               ;   in Loop: Header=BB42_2 Depth=1
	s_or_b64 exec, exec, s[30:31]
	s_waitcnt lgkmcnt(0)
	v_add_u32_e32 v4, v33, v4
	ds_bpermute_b32 v4, v29, v4
	s_waitcnt lgkmcnt(0)
	v_cndmask_b32_e64 v4, v4, v33, s[8:9]
	v_cndmask_b32_e64 v33, v4, 0, s[4:5]
	v_add_u32_e32 v34, v33, v1
	v_add_u32_e32 v1, v34, v2
	;; [unrolled: 1-line block ×3, first 2 shown]
	ds_write2_b64 v23, v[33:34], v[1:2] offset0:4 offset1:5
	s_waitcnt lgkmcnt(0)
	s_barrier
	ds_read_b32 v1, v32 offset:32
	v_lshlrev_b32_e32 v2, 2, v8
	s_waitcnt lgkmcnt(0)
	s_barrier
	v_lshl_add_u32 v1, v1, 2, v2
	ds_write_b32 v1, v31
	s_waitcnt lgkmcnt(0)
	s_barrier
	ds_read_b32 v31, v25
	s_waitcnt lgkmcnt(0)
	s_barrier
	s_and_saveexec_b64 s[30:31], vcc
; %bb.37:                               ;   in Loop: Header=BB42_2 Depth=1
	ds_write2st64_b32 v25, v6, v6 offset0:16 offset1:24
; %bb.38:                               ;   in Loop: Header=BB42_2 Depth=1
	s_or_b64 exec, exec, s[30:31]
	v_xor_b32_e32 v1, 0x80000000, v31
	s_waitcnt lgkmcnt(0)
	s_barrier
	ds_write_b32 v25, v1
	s_waitcnt lgkmcnt(0)
	s_barrier
	s_and_saveexec_b64 s[34:35], s[6:7]
	s_cbranch_execz .LBB42_41
; %bb.39:                               ;   in Loop: Header=BB42_2 Depth=1
	ds_read_b32 v2, v28
	s_waitcnt lgkmcnt(0)
	v_cmp_ne_u32_e64 s[30:31], v2, v1
	s_and_b64 exec, exec, s[30:31]
	s_cbranch_execz .LBB42_41
; %bb.40:                               ;   in Loop: Header=BB42_2 Depth=1
	v_lshlrev_b32_e32 v3, 2, v1
	v_lshlrev_b32_e32 v2, 2, v2
	ds_write_b32 v3, v0 offset:4096
	ds_write_b32 v2, v0 offset:6144
.LBB42_41:                              ;   in Loop: Header=BB42_2 Depth=1
	s_or_b64 exec, exec, s[34:35]
	s_waitcnt lgkmcnt(0)
	s_barrier
	s_and_saveexec_b64 s[30:31], s[4:5]
; %bb.42:                               ;   in Loop: Header=BB42_2 Depth=1
	v_lshlrev_b32_e32 v1, 2, v1
	ds_write_b32 v1, v7 offset:4096
; %bb.43:                               ;   in Loop: Header=BB42_2 Depth=1
	s_or_b64 exec, exec, s[30:31]
	s_waitcnt lgkmcnt(0)
	s_barrier
	s_and_saveexec_b64 s[30:31], vcc
	s_cbranch_execz .LBB42_1
; %bb.44:                               ;   in Loop: Header=BB42_2 Depth=1
	ds_read2st64_b32 v[1:2], v25 offset0:16 offset1:24
	ds_read_b32 v3, v20
	s_waitcnt lgkmcnt(1)
	v_sub_u32_e32 v1, v2, v1
	s_waitcnt lgkmcnt(0)
	v_add_u32_e32 v1, v1, v3
	ds_write_b32 v20, v1
	s_branch .LBB42_1
.LBB42_45:
	s_and_saveexec_b64 s[0:1], vcc
	s_cbranch_execz .LBB42_47
; %bb.46:
	v_mov_b32_e32 v6, 0
	ds_read_b32 v3, v20
	v_lshlrev_b64 v[0:1], 2, v[5:6]
	v_mov_b32_e32 v2, s39
	v_add_co_u32_e32 v0, vcc, s38, v0
	v_addc_co_u32_e32 v1, vcc, v2, v1, vcc
	s_waitcnt lgkmcnt(0)
	global_store_dword v[0:1], v3, off
.LBB42_47:
	s_endpgm
	.section	.rodata,"a",@progbits
	.p2align	6, 0x0
	.amdhsa_kernel _Z6kernelI9histogramILN6hipcub23BlockHistogramAlgorithmE1EEiLj512ELj1ELj512ELj100EEvPKT0_PS4_
		.amdhsa_group_segment_fixed_size 10272
		.amdhsa_private_segment_fixed_size 0
		.amdhsa_kernarg_size 272
		.amdhsa_user_sgpr_count 6
		.amdhsa_user_sgpr_private_segment_buffer 1
		.amdhsa_user_sgpr_dispatch_ptr 0
		.amdhsa_user_sgpr_queue_ptr 0
		.amdhsa_user_sgpr_kernarg_segment_ptr 1
		.amdhsa_user_sgpr_dispatch_id 0
		.amdhsa_user_sgpr_flat_scratch_init 0
		.amdhsa_user_sgpr_private_segment_size 0
		.amdhsa_uses_dynamic_stack 0
		.amdhsa_system_sgpr_private_segment_wavefront_offset 0
		.amdhsa_system_sgpr_workgroup_id_x 1
		.amdhsa_system_sgpr_workgroup_id_y 0
		.amdhsa_system_sgpr_workgroup_id_z 0
		.amdhsa_system_sgpr_workgroup_info 0
		.amdhsa_system_vgpr_workitem_id 2
		.amdhsa_next_free_vgpr 35
		.amdhsa_next_free_sgpr 43
		.amdhsa_reserve_vcc 1
		.amdhsa_reserve_flat_scratch 0
		.amdhsa_float_round_mode_32 0
		.amdhsa_float_round_mode_16_64 0
		.amdhsa_float_denorm_mode_32 3
		.amdhsa_float_denorm_mode_16_64 3
		.amdhsa_dx10_clamp 1
		.amdhsa_ieee_mode 1
		.amdhsa_fp16_overflow 0
		.amdhsa_exception_fp_ieee_invalid_op 0
		.amdhsa_exception_fp_denorm_src 0
		.amdhsa_exception_fp_ieee_div_zero 0
		.amdhsa_exception_fp_ieee_overflow 0
		.amdhsa_exception_fp_ieee_underflow 0
		.amdhsa_exception_fp_ieee_inexact 0
		.amdhsa_exception_int_div_zero 0
	.end_amdhsa_kernel
	.section	.text._Z6kernelI9histogramILN6hipcub23BlockHistogramAlgorithmE1EEiLj512ELj1ELj512ELj100EEvPKT0_PS4_,"axG",@progbits,_Z6kernelI9histogramILN6hipcub23BlockHistogramAlgorithmE1EEiLj512ELj1ELj512ELj100EEvPKT0_PS4_,comdat
.Lfunc_end42:
	.size	_Z6kernelI9histogramILN6hipcub23BlockHistogramAlgorithmE1EEiLj512ELj1ELj512ELj100EEvPKT0_PS4_, .Lfunc_end42-_Z6kernelI9histogramILN6hipcub23BlockHistogramAlgorithmE1EEiLj512ELj1ELj512ELj100EEvPKT0_PS4_
                                        ; -- End function
	.set _Z6kernelI9histogramILN6hipcub23BlockHistogramAlgorithmE1EEiLj512ELj1ELj512ELj100EEvPKT0_PS4_.num_vgpr, 35
	.set _Z6kernelI9histogramILN6hipcub23BlockHistogramAlgorithmE1EEiLj512ELj1ELj512ELj100EEvPKT0_PS4_.num_agpr, 0
	.set _Z6kernelI9histogramILN6hipcub23BlockHistogramAlgorithmE1EEiLj512ELj1ELj512ELj100EEvPKT0_PS4_.numbered_sgpr, 43
	.set _Z6kernelI9histogramILN6hipcub23BlockHistogramAlgorithmE1EEiLj512ELj1ELj512ELj100EEvPKT0_PS4_.num_named_barrier, 0
	.set _Z6kernelI9histogramILN6hipcub23BlockHistogramAlgorithmE1EEiLj512ELj1ELj512ELj100EEvPKT0_PS4_.private_seg_size, 0
	.set _Z6kernelI9histogramILN6hipcub23BlockHistogramAlgorithmE1EEiLj512ELj1ELj512ELj100EEvPKT0_PS4_.uses_vcc, 1
	.set _Z6kernelI9histogramILN6hipcub23BlockHistogramAlgorithmE1EEiLj512ELj1ELj512ELj100EEvPKT0_PS4_.uses_flat_scratch, 0
	.set _Z6kernelI9histogramILN6hipcub23BlockHistogramAlgorithmE1EEiLj512ELj1ELj512ELj100EEvPKT0_PS4_.has_dyn_sized_stack, 0
	.set _Z6kernelI9histogramILN6hipcub23BlockHistogramAlgorithmE1EEiLj512ELj1ELj512ELj100EEvPKT0_PS4_.has_recursion, 0
	.set _Z6kernelI9histogramILN6hipcub23BlockHistogramAlgorithmE1EEiLj512ELj1ELj512ELj100EEvPKT0_PS4_.has_indirect_call, 0
	.section	.AMDGPU.csdata,"",@progbits
; Kernel info:
; codeLenInByte = 4228
; TotalNumSgprs: 47
; NumVgprs: 35
; ScratchSize: 0
; MemoryBound: 0
; FloatMode: 240
; IeeeMode: 1
; LDSByteSize: 10272 bytes/workgroup (compile time only)
; SGPRBlocks: 5
; VGPRBlocks: 8
; NumSGPRsForWavesPerEU: 47
; NumVGPRsForWavesPerEU: 35
; Occupancy: 7
; WaveLimiterHint : 0
; COMPUTE_PGM_RSRC2:SCRATCH_EN: 0
; COMPUTE_PGM_RSRC2:USER_SGPR: 6
; COMPUTE_PGM_RSRC2:TRAP_HANDLER: 0
; COMPUTE_PGM_RSRC2:TGID_X_EN: 1
; COMPUTE_PGM_RSRC2:TGID_Y_EN: 0
; COMPUTE_PGM_RSRC2:TGID_Z_EN: 0
; COMPUTE_PGM_RSRC2:TIDIG_COMP_CNT: 2
	.section	.text._Z6kernelI9histogramILN6hipcub23BlockHistogramAlgorithmE1EEiLj512ELj2ELj512ELj100EEvPKT0_PS4_,"axG",@progbits,_Z6kernelI9histogramILN6hipcub23BlockHistogramAlgorithmE1EEiLj512ELj2ELj512ELj100EEvPKT0_PS4_,comdat
	.protected	_Z6kernelI9histogramILN6hipcub23BlockHistogramAlgorithmE1EEiLj512ELj2ELj512ELj100EEvPKT0_PS4_ ; -- Begin function _Z6kernelI9histogramILN6hipcub23BlockHistogramAlgorithmE1EEiLj512ELj2ELj512ELj100EEvPKT0_PS4_
	.globl	_Z6kernelI9histogramILN6hipcub23BlockHistogramAlgorithmE1EEiLj512ELj2ELj512ELj100EEvPKT0_PS4_
	.p2align	8
	.type	_Z6kernelI9histogramILN6hipcub23BlockHistogramAlgorithmE1EEiLj512ELj2ELj512ELj100EEvPKT0_PS4_,@function
_Z6kernelI9histogramILN6hipcub23BlockHistogramAlgorithmE1EEiLj512ELj2ELj512ELj100EEvPKT0_PS4_: ; @_Z6kernelI9histogramILN6hipcub23BlockHistogramAlgorithmE1EEiLj512ELj2ELj512ELj100EEvPKT0_PS4_
; %bb.0:
	s_load_dwordx4 s[40:43], s[4:5], 0x0
	s_load_dword s7, s[4:5], 0x1c
	v_lshlrev_b32_e32 v11, 1, v0
	v_mov_b32_e32 v5, 0
	v_lshl_or_b32 v3, s6, 10, v11
	v_mov_b32_e32 v4, v5
	v_lshlrev_b64 v[3:4], 2, v[3:4]
	s_waitcnt lgkmcnt(0)
	v_mov_b32_e32 v6, s41
	v_add_co_u32_e32 v3, vcc, s40, v3
	v_addc_co_u32_e32 v4, vcc, v6, v4, vcc
	global_load_dwordx2 v[3:4], v[3:4], off
	s_lshr_b32 s4, s7, 16
	v_mbcnt_lo_u32_b32 v6, -1, 0
	s_and_b32 s5, s7, 0xffff
	v_mad_u32_u24 v1, v2, s4, v1
	v_mbcnt_hi_u32_b32 v6, -1, v6
	v_mad_u64_u32 v[1:2], s[4:5], v1, s5, v[0:1]
	v_and_b32_e32 v2, 15, v6
	v_cmp_eq_u32_e64 s[4:5], 0, v2
	v_cmp_lt_u32_e64 s[36:37], 1, v2
	v_cmp_lt_u32_e64 s[8:9], 3, v2
	;; [unrolled: 1-line block ×3, first 2 shown]
	v_and_b32_e32 v2, 16, v6
	v_and_b32_e32 v8, 1, v6
	v_cmp_eq_u32_e64 s[12:13], 0, v2
	v_or_b32_e32 v2, 63, v0
	v_cmp_eq_u32_e64 s[2:3], 0, v8
	v_and_b32_e32 v8, 64, v6
	v_cmp_eq_u32_e64 s[16:17], v0, v2
	v_subrev_co_u32_e64 v2, s[22:23], 1, v6
	v_cmp_lt_i32_e32 vcc, v2, v8
	v_cndmask_b32_e32 v2, v2, v6, vcc
	v_lshlrev_b32_e32 v16, 2, v2
	v_lshrrev_b32_e32 v2, 4, v0
	v_and_b32_e32 v17, 28, v2
	v_and_b32_e32 v2, 7, v6
	v_cmp_eq_u32_e64 s[28:29], 0, v2
	v_cmp_lt_u32_e64 s[30:31], 1, v2
	v_cmp_lt_u32_e64 s[34:35], 3, v2
	v_lshlrev_b32_e32 v2, 3, v0
	s_mov_b32 s40, 0
	v_lshrrev_b32_e32 v7, 1, v6
	v_lshlrev_b32_e32 v14, 4, v0
	v_and_b32_e32 v2, 0xe00, v2
	v_or_b32_e32 v7, v7, v8
	v_mad_i32_i24 v18, v0, -12, v14
	v_lshl_or_b32 v19, v6, 2, v2
	v_lshlrev_b32_e32 v2, 2, v0
	s_mov_b32 s38, s40
	s_movk_i32 s0, 0x200
	v_lshlrev_b32_e32 v12, 2, v7
	v_add_u32_e32 v20, v18, v2
	v_add_u32_e32 v15, 0x2020, v2
	v_sub_u32_e32 v2, 0, v2
	v_lshrrev_b32_e32 v1, 4, v1
	s_mov_b32 s41, s40
	s_mov_b32 s39, s40
	v_mov_b32_e32 v7, s40
	v_mov_b32_e32 v9, s38
	v_cmp_gt_u32_e64 s[0:1], s0, v0
	v_xor_b32_e32 v13, 0x80, v12
	v_cmp_lt_u32_e64 s[14:15], 31, v6
	v_cmp_gt_u32_e64 s[18:19], 8, v0
	v_cmp_lt_u32_e64 s[20:21], 63, v0
	v_cmp_eq_u32_e64 s[24:25], 0, v0
	v_cmp_ne_u32_e64 s[26:27], 0, v0
	v_or_b32_e32 v21, 1, v11
	v_and_b32_e32 v22, 0xffffffc, v1
	v_add_u32_e32 v23, v20, v2
	v_mov_b32_e32 v24, 0x400
	v_mov_b32_e32 v25, 5
	;; [unrolled: 1-line block ×4, first 2 shown]
	s_branch .LBB43_2
.LBB43_1:                               ;   in Loop: Header=BB43_2 Depth=1
	s_or_b64 exec, exec, s[38:39]
	s_add_i32 s40, s40, 1
	s_cmpk_eq_i32 s40, 0x64
	s_cbranch_scc1 .LBB43_29
.LBB43_2:                               ; =>This Loop Header: Depth=1
                                        ;     Child Loop BB43_6 Depth 2
	s_and_saveexec_b64 s[38:39], s[0:1]
; %bb.3:                                ;   in Loop: Header=BB43_2 Depth=1
	ds_write_b32 v15, v5
; %bb.4:                                ;   in Loop: Header=BB43_2 Depth=1
	s_or_b64 exec, exec, s[38:39]
	s_waitcnt vmcnt(0)
	v_xor_b32_e32 v1, 0x80000000, v3
	v_xor_b32_e32 v2, 0x80000000, v4
	ds_bpermute_b32 v3, v12, v1
	ds_bpermute_b32 v4, v12, v2
	;; [unrolled: 1-line block ×4, first 2 shown]
	v_mov_b32_e32 v27, 0
	s_waitcnt lgkmcnt(0)
	v_cndmask_b32_e64 v1, v4, v3, s[2:3]
	s_barrier
	v_cndmask_b32_e64 v2, v2, v6, s[2:3]
	s_barrier
	s_branch .LBB43_6
.LBB43_5:                               ;   in Loop: Header=BB43_6 Depth=2
	s_andn2_b64 vcc, exec, s[38:39]
	s_cbranch_vccz .LBB43_18
.LBB43_6:                               ;   Parent Loop BB43_2 Depth=1
                                        ; =>  This Inner Loop Header: Depth=2
	v_mov_b32_e32 v28, v1
	v_lshrrev_b32_e32 v1, v27, v28
	v_mov_b32_e32 v26, v2
	v_and_b32_e32 v2, 1, v1
	v_add_co_u32_e32 v4, vcc, -1, v2
	v_addc_co_u32_e64 v6, s[38:39], 0, -1, vcc
	v_cmp_ne_u32_e32 vcc, 0, v2
	v_xor_b32_e32 v2, vcc_hi, v6
	v_lshlrev_b32_e32 v6, 30, v1
	v_xor_b32_e32 v4, vcc_lo, v4
	v_cmp_gt_i64_e32 vcc, 0, v[5:6]
	v_not_b32_e32 v6, v6
	v_ashrrev_i32_e32 v6, 31, v6
	v_and_b32_e32 v4, exec_lo, v4
	v_xor_b32_e32 v29, vcc_hi, v6
	v_xor_b32_e32 v6, vcc_lo, v6
	v_and_b32_e32 v4, v4, v6
	v_lshlrev_b32_e32 v6, 29, v1
	v_cmp_gt_i64_e32 vcc, 0, v[5:6]
	v_not_b32_e32 v6, v6
	v_and_b32_e32 v2, exec_hi, v2
	v_ashrrev_i32_e32 v6, 31, v6
	v_and_b32_e32 v2, v2, v29
	v_xor_b32_e32 v29, vcc_hi, v6
	v_xor_b32_e32 v6, vcc_lo, v6
	v_and_b32_e32 v4, v4, v6
	v_lshlrev_b32_e32 v6, 28, v1
	v_cmp_gt_i64_e32 vcc, 0, v[5:6]
	v_not_b32_e32 v6, v6
	v_ashrrev_i32_e32 v6, 31, v6
	v_and_b32_e32 v2, v2, v29
	v_xor_b32_e32 v29, vcc_hi, v6
	v_xor_b32_e32 v6, vcc_lo, v6
	v_and_b32_e32 v4, v4, v6
	v_lshlrev_b32_e32 v6, 27, v1
	v_cmp_gt_i64_e32 vcc, 0, v[5:6]
	v_not_b32_e32 v6, v6
	;; [unrolled: 8-line block ×4, first 2 shown]
	v_ashrrev_i32_e32 v6, 31, v6
	v_and_b32_e32 v2, v2, v29
	v_xor_b32_e32 v29, vcc_hi, v6
	v_xor_b32_e32 v6, vcc_lo, v6
	v_and_b32_e32 v4, v4, v6
	v_lshlrev_b32_e32 v6, 24, v1
	v_lshlrev_b32_sdwa v3, v25, v1 dst_sel:DWORD dst_unused:UNUSED_PAD src0_sel:DWORD src1_sel:BYTE_0
	v_cmp_gt_i64_e32 vcc, 0, v[5:6]
	v_not_b32_e32 v1, v6
	v_ashrrev_i32_e32 v1, 31, v1
	v_xor_b32_e32 v6, vcc_hi, v1
	v_xor_b32_e32 v1, vcc_lo, v1
	v_and_b32_e32 v2, v2, v29
	v_and_b32_e32 v1, v4, v1
	;; [unrolled: 1-line block ×3, first 2 shown]
	v_mbcnt_lo_u32_b32 v4, v1, 0
	v_mbcnt_hi_u32_b32 v29, v2, v4
	v_cmp_ne_u64_e32 vcc, 0, v[1:2]
	v_cmp_eq_u32_e64 s[38:39], 0, v29
	s_and_b64 s[44:45], vcc, s[38:39]
	v_add_u32_e32 v30, v22, v3
	ds_write2_b64 v14, v[7:8], v[9:10] offset0:4 offset1:5
	s_waitcnt lgkmcnt(0)
	s_barrier
	; wave barrier
	s_and_saveexec_b64 s[38:39], s[44:45]
; %bb.7:                                ;   in Loop: Header=BB43_6 Depth=2
	v_bcnt_u32_b32 v1, v1, 0
	v_bcnt_u32_b32 v1, v2, v1
	ds_write_b32 v30, v1 offset:32
; %bb.8:                                ;   in Loop: Header=BB43_6 Depth=2
	s_or_b64 exec, exec, s[38:39]
	v_lshrrev_b32_e32 v1, v27, v26
	v_lshlrev_b32_sdwa v2, v25, v1 dst_sel:DWORD dst_unused:UNUSED_PAD src0_sel:DWORD src1_sel:BYTE_0
	v_add_u32_e32 v32, v22, v2
	v_and_b32_e32 v2, 1, v1
	v_add_co_u32_e32 v3, vcc, -1, v2
	v_addc_co_u32_e64 v4, s[38:39], 0, -1, vcc
	v_cmp_ne_u32_e32 vcc, 0, v2
	v_lshlrev_b32_e32 v6, 30, v1
	v_xor_b32_e32 v2, vcc_hi, v4
	v_xor_b32_e32 v3, vcc_lo, v3
	v_cmp_gt_i64_e32 vcc, 0, v[5:6]
	v_not_b32_e32 v4, v6
	v_ashrrev_i32_e32 v4, 31, v4
	v_and_b32_e32 v2, exec_hi, v2
	v_xor_b32_e32 v6, vcc_hi, v4
	v_and_b32_e32 v3, exec_lo, v3
	v_xor_b32_e32 v4, vcc_lo, v4
	v_and_b32_e32 v2, v2, v6
	v_lshlrev_b32_e32 v6, 29, v1
	v_and_b32_e32 v3, v3, v4
	v_cmp_gt_i64_e32 vcc, 0, v[5:6]
	v_not_b32_e32 v4, v6
	v_ashrrev_i32_e32 v4, 31, v4
	v_xor_b32_e32 v6, vcc_hi, v4
	v_xor_b32_e32 v4, vcc_lo, v4
	v_and_b32_e32 v2, v2, v6
	v_lshlrev_b32_e32 v6, 28, v1
	v_and_b32_e32 v3, v3, v4
	v_cmp_gt_i64_e32 vcc, 0, v[5:6]
	v_not_b32_e32 v4, v6
	v_ashrrev_i32_e32 v4, 31, v4
	v_xor_b32_e32 v6, vcc_hi, v4
	;; [unrolled: 8-line block ×5, first 2 shown]
	v_and_b32_e32 v2, v2, v6
	v_lshlrev_b32_e32 v6, 24, v1
	v_xor_b32_e32 v4, vcc_lo, v4
	v_cmp_gt_i64_e32 vcc, 0, v[5:6]
	v_not_b32_e32 v1, v6
	v_ashrrev_i32_e32 v1, 31, v1
	v_and_b32_e32 v3, v3, v4
	v_xor_b32_e32 v4, vcc_hi, v1
	v_xor_b32_e32 v1, vcc_lo, v1
	; wave barrier
	ds_read_b32 v31, v32 offset:32
	v_and_b32_e32 v1, v3, v1
	v_and_b32_e32 v2, v2, v4
	v_mbcnt_lo_u32_b32 v3, v1, 0
	v_mbcnt_hi_u32_b32 v6, v2, v3
	v_cmp_ne_u64_e32 vcc, 0, v[1:2]
	v_cmp_eq_u32_e64 s[38:39], 0, v6
	s_and_b64 s[44:45], vcc, s[38:39]
	; wave barrier
	s_and_saveexec_b64 s[38:39], s[44:45]
	s_cbranch_execz .LBB43_10
; %bb.9:                                ;   in Loop: Header=BB43_6 Depth=2
	v_bcnt_u32_b32 v1, v1, 0
	v_bcnt_u32_b32 v1, v2, v1
	s_waitcnt lgkmcnt(0)
	v_add_u32_e32 v1, v31, v1
	ds_write_b32 v32, v1 offset:32
.LBB43_10:                              ;   in Loop: Header=BB43_6 Depth=2
	s_or_b64 exec, exec, s[38:39]
	; wave barrier
	s_waitcnt lgkmcnt(0)
	s_barrier
	ds_read2_b64 v[1:4], v14 offset0:4 offset1:5
	s_waitcnt lgkmcnt(0)
	v_add_u32_e32 v33, v2, v1
	v_add3_u32 v4, v33, v3, v4
	s_nop 1
	v_mov_b32_dpp v33, v4 row_shr:1 row_mask:0xf bank_mask:0xf
	v_cndmask_b32_e64 v33, v33, 0, s[4:5]
	v_add_u32_e32 v4, v33, v4
	s_nop 1
	v_mov_b32_dpp v33, v4 row_shr:2 row_mask:0xf bank_mask:0xf
	v_cndmask_b32_e64 v33, 0, v33, s[36:37]
	v_add_u32_e32 v4, v4, v33
	;; [unrolled: 4-line block ×4, first 2 shown]
	s_nop 1
	v_mov_b32_dpp v33, v4 row_bcast:15 row_mask:0xf bank_mask:0xf
	v_cndmask_b32_e64 v33, v33, 0, s[12:13]
	v_add_u32_e32 v4, v4, v33
	s_nop 1
	v_mov_b32_dpp v33, v4 row_bcast:31 row_mask:0xf bank_mask:0xf
	v_cndmask_b32_e64 v33, 0, v33, s[14:15]
	v_add_u32_e32 v4, v4, v33
	s_and_saveexec_b64 s[38:39], s[16:17]
; %bb.11:                               ;   in Loop: Header=BB43_6 Depth=2
	ds_write_b32 v17, v4
; %bb.12:                               ;   in Loop: Header=BB43_6 Depth=2
	s_or_b64 exec, exec, s[38:39]
	s_waitcnt lgkmcnt(0)
	s_barrier
	s_and_saveexec_b64 s[38:39], s[18:19]
	s_cbranch_execz .LBB43_14
; %bb.13:                               ;   in Loop: Header=BB43_6 Depth=2
	ds_read_b32 v33, v18
	s_waitcnt lgkmcnt(0)
	s_nop 0
	v_mov_b32_dpp v34, v33 row_shr:1 row_mask:0xf bank_mask:0xf
	v_cndmask_b32_e64 v34, v34, 0, s[28:29]
	v_add_u32_e32 v33, v34, v33
	s_nop 1
	v_mov_b32_dpp v34, v33 row_shr:2 row_mask:0xf bank_mask:0xf
	v_cndmask_b32_e64 v34, 0, v34, s[30:31]
	v_add_u32_e32 v33, v33, v34
	;; [unrolled: 4-line block ×3, first 2 shown]
	ds_write_b32 v18, v33
.LBB43_14:                              ;   in Loop: Header=BB43_6 Depth=2
	s_or_b64 exec, exec, s[38:39]
	v_mov_b32_e32 v33, 0
	s_waitcnt lgkmcnt(0)
	s_barrier
	s_and_saveexec_b64 s[38:39], s[20:21]
; %bb.15:                               ;   in Loop: Header=BB43_6 Depth=2
	v_add_u32_e32 v33, -4, v17
	ds_read_b32 v33, v33
; %bb.16:                               ;   in Loop: Header=BB43_6 Depth=2
	s_or_b64 exec, exec, s[38:39]
	s_waitcnt lgkmcnt(0)
	v_add_u32_e32 v4, v33, v4
	ds_bpermute_b32 v4, v16, v4
	v_cmp_lt_u32_e32 vcc, 23, v27
	s_and_b64 vcc, exec, vcc
	s_mov_b64 s[38:39], -1
	s_waitcnt lgkmcnt(0)
	v_cndmask_b32_e64 v4, v4, v33, s[22:23]
	v_cndmask_b32_e64 v33, v4, 0, s[24:25]
	v_add_u32_e32 v34, v33, v1
	v_add_u32_e32 v1, v34, v2
	;; [unrolled: 1-line block ×3, first 2 shown]
	ds_write2_b64 v14, v[33:34], v[1:2] offset0:4 offset1:5
	s_waitcnt lgkmcnt(0)
	s_barrier
	ds_read_b32 v1, v30 offset:32
	ds_read_b32 v2, v32 offset:32
	s_waitcnt lgkmcnt(1)
	v_add_u32_e32 v4, v1, v29
	s_waitcnt lgkmcnt(0)
	v_add3_u32 v3, v6, v31, v2
                                        ; implicit-def: $vgpr2
	s_cbranch_vccnz .LBB43_5
; %bb.17:                               ;   in Loop: Header=BB43_6 Depth=2
	v_lshlrev_b32_e32 v1, 2, v4
	s_barrier
	ds_write_b32 v1, v28
	v_lshlrev_b32_e32 v1, 2, v3
	ds_write_b32 v1, v26
	s_waitcnt lgkmcnt(0)
	s_barrier
	ds_read2st64_b32 v[1:2], v19 offset1:1
	v_add_u32_e32 v27, 8, v27
	s_mov_b64 s[38:39], 0
	s_waitcnt lgkmcnt(0)
	s_barrier
	s_branch .LBB43_5
.LBB43_18:                              ;   in Loop: Header=BB43_2 Depth=1
	v_lshlrev_b32_e32 v1, 2, v4
	s_barrier
	ds_write_b32 v1, v28
	v_lshlrev_b32_e32 v1, 2, v3
	ds_write_b32 v1, v26
	s_waitcnt lgkmcnt(0)
	s_barrier
	ds_read_b64 v[1:2], v20
	s_waitcnt lgkmcnt(0)
	s_barrier
	s_and_saveexec_b64 s[38:39], s[0:1]
; %bb.19:                               ;   in Loop: Header=BB43_2 Depth=1
	ds_write2st64_b32 v23, v24, v24 offset0:16 offset1:24
; %bb.20:                               ;   in Loop: Header=BB43_2 Depth=1
	s_or_b64 exec, exec, s[38:39]
	v_xor_b32_e32 v3, 0x80000000, v1
	v_xor_b32_e32 v4, 0x80000000, v2
	v_cmp_ne_u32_e32 vcc, v1, v2
	v_lshlrev_b32_e32 v1, 2, v3
	s_waitcnt lgkmcnt(0)
	s_barrier
	ds_write_b32 v18, v4
	s_and_saveexec_b64 s[38:39], vcc
	s_cbranch_execz .LBB43_22
; %bb.21:                               ;   in Loop: Header=BB43_2 Depth=1
	v_lshlrev_b32_e32 v2, 2, v4
	ds_write_b32 v2, v21 offset:4096
	ds_write_b32 v1, v21 offset:6144
.LBB43_22:                              ;   in Loop: Header=BB43_2 Depth=1
	s_or_b64 exec, exec, s[38:39]
	s_waitcnt lgkmcnt(0)
	s_barrier
	s_and_saveexec_b64 s[38:39], s[26:27]
	s_cbranch_execz .LBB43_25
; %bb.23:                               ;   in Loop: Header=BB43_2 Depth=1
	v_add_u32_e32 v2, -4, v18
	ds_read_b32 v2, v2
	s_waitcnt lgkmcnt(0)
	v_cmp_ne_u32_e32 vcc, v2, v3
	s_and_b64 exec, exec, vcc
	s_cbranch_execz .LBB43_25
; %bb.24:                               ;   in Loop: Header=BB43_2 Depth=1
	v_lshlrev_b32_e32 v2, 2, v2
	ds_write_b32 v1, v11 offset:4096
	ds_write_b32 v2, v11 offset:6144
.LBB43_25:                              ;   in Loop: Header=BB43_2 Depth=1
	s_or_b64 exec, exec, s[38:39]
	s_waitcnt lgkmcnt(0)
	s_barrier
	s_and_saveexec_b64 s[38:39], s[24:25]
; %bb.26:                               ;   in Loop: Header=BB43_2 Depth=1
	ds_write_b32 v1, v5 offset:4096
; %bb.27:                               ;   in Loop: Header=BB43_2 Depth=1
	s_or_b64 exec, exec, s[38:39]
	s_waitcnt lgkmcnt(0)
	s_barrier
	s_and_saveexec_b64 s[38:39], s[0:1]
	s_cbranch_execz .LBB43_1
; %bb.28:                               ;   in Loop: Header=BB43_2 Depth=1
	ds_read2st64_b32 v[1:2], v23 offset0:16 offset1:24
	ds_read_b32 v6, v15
	s_waitcnt lgkmcnt(1)
	v_sub_u32_e32 v1, v2, v1
	s_waitcnt lgkmcnt(0)
	v_add_u32_e32 v1, v1, v6
	ds_write_b32 v15, v1
	s_branch .LBB43_1
.LBB43_29:
	s_and_saveexec_b64 s[2:3], s[0:1]
	s_cbranch_execz .LBB43_31
; %bb.30:
	v_lshl_or_b32 v0, s6, 9, v0
	v_mov_b32_e32 v1, 0
	ds_read_b32 v3, v15
	v_lshlrev_b64 v[0:1], 2, v[0:1]
	v_mov_b32_e32 v2, s43
	v_add_co_u32_e32 v0, vcc, s42, v0
	v_addc_co_u32_e32 v1, vcc, v2, v1, vcc
	s_waitcnt lgkmcnt(0)
	global_store_dword v[0:1], v3, off
.LBB43_31:
	s_endpgm
	.section	.rodata,"a",@progbits
	.p2align	6, 0x0
	.amdhsa_kernel _Z6kernelI9histogramILN6hipcub23BlockHistogramAlgorithmE1EEiLj512ELj2ELj512ELj100EEvPKT0_PS4_
		.amdhsa_group_segment_fixed_size 10272
		.amdhsa_private_segment_fixed_size 0
		.amdhsa_kernarg_size 272
		.amdhsa_user_sgpr_count 6
		.amdhsa_user_sgpr_private_segment_buffer 1
		.amdhsa_user_sgpr_dispatch_ptr 0
		.amdhsa_user_sgpr_queue_ptr 0
		.amdhsa_user_sgpr_kernarg_segment_ptr 1
		.amdhsa_user_sgpr_dispatch_id 0
		.amdhsa_user_sgpr_flat_scratch_init 0
		.amdhsa_user_sgpr_private_segment_size 0
		.amdhsa_uses_dynamic_stack 0
		.amdhsa_system_sgpr_private_segment_wavefront_offset 0
		.amdhsa_system_sgpr_workgroup_id_x 1
		.amdhsa_system_sgpr_workgroup_id_y 0
		.amdhsa_system_sgpr_workgroup_id_z 0
		.amdhsa_system_sgpr_workgroup_info 0
		.amdhsa_system_vgpr_workitem_id 2
		.amdhsa_next_free_vgpr 35
		.amdhsa_next_free_sgpr 46
		.amdhsa_reserve_vcc 1
		.amdhsa_reserve_flat_scratch 0
		.amdhsa_float_round_mode_32 0
		.amdhsa_float_round_mode_16_64 0
		.amdhsa_float_denorm_mode_32 3
		.amdhsa_float_denorm_mode_16_64 3
		.amdhsa_dx10_clamp 1
		.amdhsa_ieee_mode 1
		.amdhsa_fp16_overflow 0
		.amdhsa_exception_fp_ieee_invalid_op 0
		.amdhsa_exception_fp_denorm_src 0
		.amdhsa_exception_fp_ieee_div_zero 0
		.amdhsa_exception_fp_ieee_overflow 0
		.amdhsa_exception_fp_ieee_underflow 0
		.amdhsa_exception_fp_ieee_inexact 0
		.amdhsa_exception_int_div_zero 0
	.end_amdhsa_kernel
	.section	.text._Z6kernelI9histogramILN6hipcub23BlockHistogramAlgorithmE1EEiLj512ELj2ELj512ELj100EEvPKT0_PS4_,"axG",@progbits,_Z6kernelI9histogramILN6hipcub23BlockHistogramAlgorithmE1EEiLj512ELj2ELj512ELj100EEvPKT0_PS4_,comdat
.Lfunc_end43:
	.size	_Z6kernelI9histogramILN6hipcub23BlockHistogramAlgorithmE1EEiLj512ELj2ELj512ELj100EEvPKT0_PS4_, .Lfunc_end43-_Z6kernelI9histogramILN6hipcub23BlockHistogramAlgorithmE1EEiLj512ELj2ELj512ELj100EEvPKT0_PS4_
                                        ; -- End function
	.set _Z6kernelI9histogramILN6hipcub23BlockHistogramAlgorithmE1EEiLj512ELj2ELj512ELj100EEvPKT0_PS4_.num_vgpr, 35
	.set _Z6kernelI9histogramILN6hipcub23BlockHistogramAlgorithmE1EEiLj512ELj2ELj512ELj100EEvPKT0_PS4_.num_agpr, 0
	.set _Z6kernelI9histogramILN6hipcub23BlockHistogramAlgorithmE1EEiLj512ELj2ELj512ELj100EEvPKT0_PS4_.numbered_sgpr, 46
	.set _Z6kernelI9histogramILN6hipcub23BlockHistogramAlgorithmE1EEiLj512ELj2ELj512ELj100EEvPKT0_PS4_.num_named_barrier, 0
	.set _Z6kernelI9histogramILN6hipcub23BlockHistogramAlgorithmE1EEiLj512ELj2ELj512ELj100EEvPKT0_PS4_.private_seg_size, 0
	.set _Z6kernelI9histogramILN6hipcub23BlockHistogramAlgorithmE1EEiLj512ELj2ELj512ELj100EEvPKT0_PS4_.uses_vcc, 1
	.set _Z6kernelI9histogramILN6hipcub23BlockHistogramAlgorithmE1EEiLj512ELj2ELj512ELj100EEvPKT0_PS4_.uses_flat_scratch, 0
	.set _Z6kernelI9histogramILN6hipcub23BlockHistogramAlgorithmE1EEiLj512ELj2ELj512ELj100EEvPKT0_PS4_.has_dyn_sized_stack, 0
	.set _Z6kernelI9histogramILN6hipcub23BlockHistogramAlgorithmE1EEiLj512ELj2ELj512ELj100EEvPKT0_PS4_.has_recursion, 0
	.set _Z6kernelI9histogramILN6hipcub23BlockHistogramAlgorithmE1EEiLj512ELj2ELj512ELj100EEvPKT0_PS4_.has_indirect_call, 0
	.section	.AMDGPU.csdata,"",@progbits
; Kernel info:
; codeLenInByte = 2160
; TotalNumSgprs: 50
; NumVgprs: 35
; ScratchSize: 0
; MemoryBound: 0
; FloatMode: 240
; IeeeMode: 1
; LDSByteSize: 10272 bytes/workgroup (compile time only)
; SGPRBlocks: 6
; VGPRBlocks: 8
; NumSGPRsForWavesPerEU: 50
; NumVGPRsForWavesPerEU: 35
; Occupancy: 7
; WaveLimiterHint : 0
; COMPUTE_PGM_RSRC2:SCRATCH_EN: 0
; COMPUTE_PGM_RSRC2:USER_SGPR: 6
; COMPUTE_PGM_RSRC2:TRAP_HANDLER: 0
; COMPUTE_PGM_RSRC2:TGID_X_EN: 1
; COMPUTE_PGM_RSRC2:TGID_Y_EN: 0
; COMPUTE_PGM_RSRC2:TGID_Z_EN: 0
; COMPUTE_PGM_RSRC2:TIDIG_COMP_CNT: 2
	.section	.text._Z6kernelI9histogramILN6hipcub23BlockHistogramAlgorithmE1EEiLj512ELj3ELj512ELj100EEvPKT0_PS4_,"axG",@progbits,_Z6kernelI9histogramILN6hipcub23BlockHistogramAlgorithmE1EEiLj512ELj3ELj512ELj100EEvPKT0_PS4_,comdat
	.protected	_Z6kernelI9histogramILN6hipcub23BlockHistogramAlgorithmE1EEiLj512ELj3ELj512ELj100EEvPKT0_PS4_ ; -- Begin function _Z6kernelI9histogramILN6hipcub23BlockHistogramAlgorithmE1EEiLj512ELj3ELj512ELj100EEvPKT0_PS4_
	.globl	_Z6kernelI9histogramILN6hipcub23BlockHistogramAlgorithmE1EEiLj512ELj3ELj512ELj100EEvPKT0_PS4_
	.p2align	8
	.type	_Z6kernelI9histogramILN6hipcub23BlockHistogramAlgorithmE1EEiLj512ELj3ELj512ELj100EEvPKT0_PS4_,@function
_Z6kernelI9histogramILN6hipcub23BlockHistogramAlgorithmE1EEiLj512ELj3ELj512ELj100EEvPKT0_PS4_: ; @_Z6kernelI9histogramILN6hipcub23BlockHistogramAlgorithmE1EEiLj512ELj3ELj512ELj100EEvPKT0_PS4_
; %bb.0:
	s_lshl_b32 s0, s6, 9
	s_load_dwordx4 s[36:39], s[4:5], 0x0
	s_load_dword s2, s[4:5], 0x1c
	v_or_b32_e32 v4, s0, v0
	v_mov_b32_e32 v5, 0
	v_lshl_add_u32 v6, v4, 1, v4
	v_mov_b32_e32 v7, v5
	v_lshlrev_b64 v[7:8], 2, v[6:7]
	v_add_u32_e32 v9, 1, v6
	v_mov_b32_e32 v10, v5
	s_waitcnt lgkmcnt(0)
	v_mov_b32_e32 v3, s37
	v_add_co_u32_e32 v7, vcc, s36, v7
	v_lshlrev_b64 v[9:10], 2, v[9:10]
	v_addc_co_u32_e32 v8, vcc, v3, v8, vcc
	v_add_u32_e32 v11, 2, v6
	v_mov_b32_e32 v12, v5
	v_add_co_u32_e32 v9, vcc, s36, v9
	v_lshlrev_b64 v[11:12], 2, v[11:12]
	v_addc_co_u32_e32 v10, vcc, v3, v10, vcc
	v_add_co_u32_e32 v11, vcc, s36, v11
	v_addc_co_u32_e32 v12, vcc, v3, v12, vcc
	global_load_dword v26, v[7:8], off
	global_load_dword v3, v[9:10], off
	;; [unrolled: 1-line block ×3, first 2 shown]
	s_lshr_b32 s3, s2, 16
	v_mbcnt_lo_u32_b32 v7, -1, 0
	s_and_b32 s2, s2, 0xffff
	v_mad_u32_u24 v1, v2, s3, v1
	v_mbcnt_hi_u32_b32 v7, -1, v7
	v_mad_u64_u32 v[1:2], s[2:3], v1, s2, v[0:1]
	v_and_b32_e32 v2, 15, v7
	v_cmp_eq_u32_e64 s[2:3], 0, v2
	v_cmp_lt_u32_e64 s[4:5], 1, v2
	v_cmp_lt_u32_e64 s[6:7], 3, v2
	;; [unrolled: 1-line block ×3, first 2 shown]
	v_and_b32_e32 v2, 16, v7
	v_cmp_eq_u32_e64 s[10:11], 0, v2
	v_and_b32_e32 v2, 0x1c0, v0
	v_and_b32_e32 v12, 7, v7
	s_movk_i32 s0, 0x200
	v_lshrrev_b32_e32 v8, 6, v0
	v_lshlrev_b32_e32 v11, 4, v0
	v_or_b32_e32 v9, 63, v2
	v_cmp_eq_u32_e64 s[24:25], 0, v12
	v_cmp_lt_u32_e64 s[26:27], 1, v12
	v_cmp_lt_u32_e64 s[28:29], 3, v12
	v_mov_b32_e32 v12, 0x2020
	v_cmp_gt_u32_e64 s[0:1], s0, v0
	v_cmp_eq_u32_e64 s[12:13], v0, v9
	v_cmp_gt_u32_e64 s[14:15], 8, v0
	v_cmp_lt_u32_e64 s[16:17], 63, v0
	v_subrev_co_u32_e64 v9, s[18:19], 1, v7
	v_and_b32_e32 v10, 64, v7
	v_cmp_eq_u32_e64 s[20:21], 0, v0
	v_cmp_ne_u32_e64 s[22:23], 0, v0
	v_mad_i32_i24 v13, v0, -12, v11
	v_mul_u32_u24_e32 v14, 3, v0
	v_lshlrev_b32_e32 v23, 3, v0
	v_lshl_add_u32 v12, v0, 2, v12
	v_mad_u32_u24 v15, v0, 3, 2
	v_mad_u32_u24 v16, v0, 3, 1
	v_lshrrev_b32_e32 v0, 4, v1
	v_mul_u32_u24_e32 v1, 0xc0, v8
	v_lshlrev_b32_e32 v1, 2, v1
	v_cmp_lt_i32_e32 vcc, v9, v10
	v_cmp_lt_u32_e64 s[30:31], 31, v7
	v_cndmask_b32_e32 v9, v9, v7, vcc
	v_mad_u32_u24 v17, v7, 12, v1
	v_lshlrev_b32_e32 v7, 2, v7
	s_mov_b32 s36, 0
	v_add_u32_e32 v18, v7, v1
	v_mul_u32_u24_e32 v1, 12, v2
	s_mov_b32 s34, s36
	v_add_u32_e32 v19, v7, v1
	v_lshlrev_b32_e32 v20, 2, v9
	v_lshlrev_b32_e32 v21, 2, v8
	v_add_u32_e32 v22, v13, v23
	v_sub_u32_e32 v1, 0, v23
	s_mov_b32 s37, s36
	s_mov_b32 s35, s36
	v_mov_b32_e32 v7, s36
	v_mov_b32_e32 v9, s34
	v_and_b32_e32 v23, 0xffffffc, v0
	v_add_u32_e32 v24, v22, v1
	v_mov_b32_e32 v25, 5
	v_mov_b32_e32 v8, s37
	;; [unrolled: 1-line block ×3, first 2 shown]
	s_branch .LBB44_2
.LBB44_1:                               ;   in Loop: Header=BB44_2 Depth=1
	s_or_b64 exec, exec, s[34:35]
	s_add_i32 s36, s36, 1
	s_cmpk_eq_i32 s36, 0x64
	s_cbranch_scc1 .LBB44_33
.LBB44_2:                               ; =>This Loop Header: Depth=1
                                        ;     Child Loop BB44_6 Depth 2
	s_and_saveexec_b64 s[34:35], s[0:1]
; %bb.3:                                ;   in Loop: Header=BB44_2 Depth=1
	ds_write_b32 v12, v5
; %bb.4:                                ;   in Loop: Header=BB44_2 Depth=1
	s_or_b64 exec, exec, s[34:35]
	s_waitcnt vmcnt(2)
	v_xor_b32_e32 v0, 0x80000000, v26
	s_waitcnt vmcnt(1)
	v_xor_b32_e32 v1, 0x80000000, v3
	s_waitcnt vmcnt(0) lgkmcnt(0)
	s_barrier
	v_xor_b32_e32 v2, 0x80000000, v6
	ds_write2_b32 v17, v0, v1 offset1:1
	ds_write_b32 v17, v2 offset:8
	; wave barrier
	ds_read2st64_b32 v[0:1], v18 offset1:1
	ds_read_b32 v6, v18 offset:512
	v_mov_b32_e32 v28, 0
	s_waitcnt lgkmcnt(0)
	s_barrier
	; wave barrier
	s_barrier
	s_branch .LBB44_6
.LBB44_5:                               ;   in Loop: Header=BB44_6 Depth=2
	s_andn2_b64 vcc, exec, s[34:35]
	s_cbranch_vccz .LBB44_20
.LBB44_6:                               ;   Parent Loop BB44_2 Depth=1
                                        ; =>  This Inner Loop Header: Depth=2
	v_mov_b32_e32 v29, v0
	v_lshrrev_b32_e32 v0, v28, v29
	v_mov_b32_e32 v27, v1
	v_and_b32_e32 v1, 1, v0
	v_add_co_u32_e32 v3, vcc, -1, v1
	v_mov_b32_e32 v26, v6
	v_addc_co_u32_e64 v6, s[34:35], 0, -1, vcc
	v_cmp_ne_u32_e32 vcc, 0, v1
	v_xor_b32_e32 v1, vcc_hi, v6
	v_lshlrev_b32_e32 v6, 30, v0
	v_xor_b32_e32 v3, vcc_lo, v3
	v_cmp_gt_i64_e32 vcc, 0, v[5:6]
	v_not_b32_e32 v6, v6
	v_ashrrev_i32_e32 v6, 31, v6
	v_and_b32_e32 v3, exec_lo, v3
	v_xor_b32_e32 v30, vcc_hi, v6
	v_xor_b32_e32 v6, vcc_lo, v6
	v_and_b32_e32 v3, v3, v6
	v_lshlrev_b32_e32 v6, 29, v0
	v_cmp_gt_i64_e32 vcc, 0, v[5:6]
	v_not_b32_e32 v6, v6
	v_and_b32_e32 v1, exec_hi, v1
	v_ashrrev_i32_e32 v6, 31, v6
	v_and_b32_e32 v1, v1, v30
	v_xor_b32_e32 v30, vcc_hi, v6
	v_xor_b32_e32 v6, vcc_lo, v6
	v_and_b32_e32 v3, v3, v6
	v_lshlrev_b32_e32 v6, 28, v0
	v_cmp_gt_i64_e32 vcc, 0, v[5:6]
	v_not_b32_e32 v6, v6
	v_ashrrev_i32_e32 v6, 31, v6
	v_and_b32_e32 v1, v1, v30
	v_xor_b32_e32 v30, vcc_hi, v6
	v_xor_b32_e32 v6, vcc_lo, v6
	v_and_b32_e32 v3, v3, v6
	v_lshlrev_b32_e32 v6, 27, v0
	v_cmp_gt_i64_e32 vcc, 0, v[5:6]
	v_not_b32_e32 v6, v6
	;; [unrolled: 8-line block ×4, first 2 shown]
	v_ashrrev_i32_e32 v6, 31, v6
	v_and_b32_e32 v1, v1, v30
	v_xor_b32_e32 v30, vcc_hi, v6
	v_xor_b32_e32 v6, vcc_lo, v6
	v_and_b32_e32 v3, v3, v6
	v_lshlrev_b32_e32 v6, 24, v0
	v_lshlrev_b32_sdwa v2, v25, v0 dst_sel:DWORD dst_unused:UNUSED_PAD src0_sel:DWORD src1_sel:BYTE_0
	v_cmp_gt_i64_e32 vcc, 0, v[5:6]
	v_not_b32_e32 v0, v6
	v_ashrrev_i32_e32 v0, 31, v0
	v_xor_b32_e32 v6, vcc_hi, v0
	v_xor_b32_e32 v0, vcc_lo, v0
	v_and_b32_e32 v1, v1, v30
	v_and_b32_e32 v0, v3, v0
	;; [unrolled: 1-line block ×3, first 2 shown]
	v_mbcnt_lo_u32_b32 v3, v0, 0
	v_mbcnt_hi_u32_b32 v30, v1, v3
	v_cmp_ne_u64_e32 vcc, 0, v[0:1]
	v_cmp_eq_u32_e64 s[34:35], 0, v30
	s_and_b64 s[40:41], vcc, s[34:35]
	v_add_u32_e32 v31, v23, v2
	ds_write2_b64 v11, v[7:8], v[9:10] offset0:4 offset1:5
	s_waitcnt lgkmcnt(0)
	s_barrier
	; wave barrier
	s_and_saveexec_b64 s[34:35], s[40:41]
; %bb.7:                                ;   in Loop: Header=BB44_6 Depth=2
	v_bcnt_u32_b32 v0, v0, 0
	v_bcnt_u32_b32 v0, v1, v0
	ds_write_b32 v31, v0 offset:32
; %bb.8:                                ;   in Loop: Header=BB44_6 Depth=2
	s_or_b64 exec, exec, s[34:35]
	v_lshrrev_b32_e32 v0, v28, v27
	v_lshlrev_b32_sdwa v1, v25, v0 dst_sel:DWORD dst_unused:UNUSED_PAD src0_sel:DWORD src1_sel:BYTE_0
	v_add_u32_e32 v33, v23, v1
	v_and_b32_e32 v1, 1, v0
	v_add_co_u32_e32 v2, vcc, -1, v1
	v_addc_co_u32_e64 v3, s[34:35], 0, -1, vcc
	v_cmp_ne_u32_e32 vcc, 0, v1
	v_lshlrev_b32_e32 v6, 30, v0
	v_xor_b32_e32 v1, vcc_hi, v3
	v_xor_b32_e32 v2, vcc_lo, v2
	v_cmp_gt_i64_e32 vcc, 0, v[5:6]
	v_not_b32_e32 v3, v6
	v_ashrrev_i32_e32 v3, 31, v3
	v_and_b32_e32 v1, exec_hi, v1
	v_xor_b32_e32 v6, vcc_hi, v3
	v_and_b32_e32 v2, exec_lo, v2
	v_xor_b32_e32 v3, vcc_lo, v3
	v_and_b32_e32 v1, v1, v6
	v_lshlrev_b32_e32 v6, 29, v0
	v_and_b32_e32 v2, v2, v3
	v_cmp_gt_i64_e32 vcc, 0, v[5:6]
	v_not_b32_e32 v3, v6
	v_ashrrev_i32_e32 v3, 31, v3
	v_xor_b32_e32 v6, vcc_hi, v3
	v_xor_b32_e32 v3, vcc_lo, v3
	v_and_b32_e32 v1, v1, v6
	v_lshlrev_b32_e32 v6, 28, v0
	v_and_b32_e32 v2, v2, v3
	v_cmp_gt_i64_e32 vcc, 0, v[5:6]
	v_not_b32_e32 v3, v6
	v_ashrrev_i32_e32 v3, 31, v3
	v_xor_b32_e32 v6, vcc_hi, v3
	;; [unrolled: 8-line block ×5, first 2 shown]
	v_and_b32_e32 v1, v1, v6
	v_lshlrev_b32_e32 v6, 24, v0
	v_xor_b32_e32 v3, vcc_lo, v3
	v_cmp_gt_i64_e32 vcc, 0, v[5:6]
	v_not_b32_e32 v0, v6
	v_ashrrev_i32_e32 v0, 31, v0
	v_and_b32_e32 v2, v2, v3
	v_xor_b32_e32 v3, vcc_hi, v0
	v_xor_b32_e32 v0, vcc_lo, v0
	; wave barrier
	ds_read_b32 v32, v33 offset:32
	v_and_b32_e32 v0, v2, v0
	v_and_b32_e32 v1, v1, v3
	v_mbcnt_lo_u32_b32 v2, v0, 0
	v_mbcnt_hi_u32_b32 v34, v1, v2
	v_cmp_ne_u64_e32 vcc, 0, v[0:1]
	v_cmp_eq_u32_e64 s[34:35], 0, v34
	s_and_b64 s[40:41], vcc, s[34:35]
	; wave barrier
	s_and_saveexec_b64 s[34:35], s[40:41]
	s_cbranch_execz .LBB44_10
; %bb.9:                                ;   in Loop: Header=BB44_6 Depth=2
	v_bcnt_u32_b32 v0, v0, 0
	v_bcnt_u32_b32 v0, v1, v0
	s_waitcnt lgkmcnt(0)
	v_add_u32_e32 v0, v32, v0
	ds_write_b32 v33, v0 offset:32
.LBB44_10:                              ;   in Loop: Header=BB44_6 Depth=2
	s_or_b64 exec, exec, s[34:35]
	v_lshrrev_b32_e32 v0, v28, v26
	v_lshlrev_b32_sdwa v1, v25, v0 dst_sel:DWORD dst_unused:UNUSED_PAD src0_sel:DWORD src1_sel:BYTE_0
	v_add_u32_e32 v36, v23, v1
	v_and_b32_e32 v1, 1, v0
	v_add_co_u32_e32 v2, vcc, -1, v1
	v_addc_co_u32_e64 v3, s[34:35], 0, -1, vcc
	v_cmp_ne_u32_e32 vcc, 0, v1
	v_lshlrev_b32_e32 v6, 30, v0
	v_xor_b32_e32 v1, vcc_hi, v3
	v_xor_b32_e32 v2, vcc_lo, v2
	v_cmp_gt_i64_e32 vcc, 0, v[5:6]
	v_not_b32_e32 v3, v6
	v_ashrrev_i32_e32 v3, 31, v3
	v_and_b32_e32 v1, exec_hi, v1
	v_xor_b32_e32 v6, vcc_hi, v3
	v_and_b32_e32 v2, exec_lo, v2
	v_xor_b32_e32 v3, vcc_lo, v3
	v_and_b32_e32 v1, v1, v6
	v_lshlrev_b32_e32 v6, 29, v0
	v_and_b32_e32 v2, v2, v3
	v_cmp_gt_i64_e32 vcc, 0, v[5:6]
	v_not_b32_e32 v3, v6
	v_ashrrev_i32_e32 v3, 31, v3
	v_xor_b32_e32 v6, vcc_hi, v3
	v_xor_b32_e32 v3, vcc_lo, v3
	v_and_b32_e32 v1, v1, v6
	v_lshlrev_b32_e32 v6, 28, v0
	v_and_b32_e32 v2, v2, v3
	v_cmp_gt_i64_e32 vcc, 0, v[5:6]
	v_not_b32_e32 v3, v6
	v_ashrrev_i32_e32 v3, 31, v3
	v_xor_b32_e32 v6, vcc_hi, v3
	;; [unrolled: 8-line block ×5, first 2 shown]
	v_and_b32_e32 v1, v1, v6
	v_lshlrev_b32_e32 v6, 24, v0
	v_xor_b32_e32 v3, vcc_lo, v3
	v_cmp_gt_i64_e32 vcc, 0, v[5:6]
	v_not_b32_e32 v0, v6
	v_ashrrev_i32_e32 v0, 31, v0
	v_and_b32_e32 v2, v2, v3
	v_xor_b32_e32 v3, vcc_hi, v0
	v_xor_b32_e32 v0, vcc_lo, v0
	; wave barrier
	ds_read_b32 v35, v36 offset:32
	v_and_b32_e32 v0, v2, v0
	v_and_b32_e32 v1, v1, v3
	v_mbcnt_lo_u32_b32 v2, v0, 0
	v_mbcnt_hi_u32_b32 v6, v1, v2
	v_cmp_ne_u64_e32 vcc, 0, v[0:1]
	v_cmp_eq_u32_e64 s[34:35], 0, v6
	s_and_b64 s[40:41], vcc, s[34:35]
	; wave barrier
	s_and_saveexec_b64 s[34:35], s[40:41]
	s_cbranch_execz .LBB44_12
; %bb.11:                               ;   in Loop: Header=BB44_6 Depth=2
	v_bcnt_u32_b32 v0, v0, 0
	v_bcnt_u32_b32 v0, v1, v0
	s_waitcnt lgkmcnt(0)
	v_add_u32_e32 v0, v35, v0
	ds_write_b32 v36, v0 offset:32
.LBB44_12:                              ;   in Loop: Header=BB44_6 Depth=2
	s_or_b64 exec, exec, s[34:35]
	; wave barrier
	s_waitcnt lgkmcnt(0)
	s_barrier
	ds_read2_b64 v[0:3], v11 offset0:4 offset1:5
	s_waitcnt lgkmcnt(0)
	v_add_u32_e32 v37, v1, v0
	v_add3_u32 v3, v37, v2, v3
	s_nop 1
	v_mov_b32_dpp v37, v3 row_shr:1 row_mask:0xf bank_mask:0xf
	v_cndmask_b32_e64 v37, v37, 0, s[2:3]
	v_add_u32_e32 v3, v37, v3
	s_nop 1
	v_mov_b32_dpp v37, v3 row_shr:2 row_mask:0xf bank_mask:0xf
	v_cndmask_b32_e64 v37, 0, v37, s[4:5]
	v_add_u32_e32 v3, v3, v37
	;; [unrolled: 4-line block ×4, first 2 shown]
	s_nop 1
	v_mov_b32_dpp v37, v3 row_bcast:15 row_mask:0xf bank_mask:0xf
	v_cndmask_b32_e64 v37, v37, 0, s[10:11]
	v_add_u32_e32 v3, v3, v37
	s_nop 1
	v_mov_b32_dpp v37, v3 row_bcast:31 row_mask:0xf bank_mask:0xf
	v_cndmask_b32_e64 v37, 0, v37, s[30:31]
	v_add_u32_e32 v3, v3, v37
	s_and_saveexec_b64 s[34:35], s[12:13]
; %bb.13:                               ;   in Loop: Header=BB44_6 Depth=2
	ds_write_b32 v21, v3
; %bb.14:                               ;   in Loop: Header=BB44_6 Depth=2
	s_or_b64 exec, exec, s[34:35]
	s_waitcnt lgkmcnt(0)
	s_barrier
	s_and_saveexec_b64 s[34:35], s[14:15]
	s_cbranch_execz .LBB44_16
; %bb.15:                               ;   in Loop: Header=BB44_6 Depth=2
	ds_read_b32 v37, v13
	s_waitcnt lgkmcnt(0)
	s_nop 0
	v_mov_b32_dpp v38, v37 row_shr:1 row_mask:0xf bank_mask:0xf
	v_cndmask_b32_e64 v38, v38, 0, s[24:25]
	v_add_u32_e32 v37, v38, v37
	s_nop 1
	v_mov_b32_dpp v38, v37 row_shr:2 row_mask:0xf bank_mask:0xf
	v_cndmask_b32_e64 v38, 0, v38, s[26:27]
	v_add_u32_e32 v37, v37, v38
	;; [unrolled: 4-line block ×3, first 2 shown]
	ds_write_b32 v13, v37
.LBB44_16:                              ;   in Loop: Header=BB44_6 Depth=2
	s_or_b64 exec, exec, s[34:35]
	v_mov_b32_e32 v37, 0
	s_waitcnt lgkmcnt(0)
	s_barrier
	s_and_saveexec_b64 s[34:35], s[16:17]
; %bb.17:                               ;   in Loop: Header=BB44_6 Depth=2
	v_add_u32_e32 v37, -4, v21
	ds_read_b32 v37, v37
; %bb.18:                               ;   in Loop: Header=BB44_6 Depth=2
	s_or_b64 exec, exec, s[34:35]
	s_waitcnt lgkmcnt(0)
	v_add_u32_e32 v3, v37, v3
	ds_bpermute_b32 v3, v20, v3
	v_cmp_lt_u32_e32 vcc, 23, v28
	s_and_b64 vcc, exec, vcc
	s_mov_b64 s[34:35], -1
	s_waitcnt lgkmcnt(0)
	v_cndmask_b32_e64 v3, v3, v37, s[18:19]
	v_cndmask_b32_e64 v37, v3, 0, s[20:21]
	v_add_u32_e32 v38, v37, v0
	v_add_u32_e32 v0, v38, v1
	;; [unrolled: 1-line block ×3, first 2 shown]
	ds_write2_b64 v11, v[37:38], v[0:1] offset0:4 offset1:5
	s_waitcnt lgkmcnt(0)
	s_barrier
	ds_read_b32 v0, v31 offset:32
	ds_read_b32 v1, v33 offset:32
	;; [unrolled: 1-line block ×3, first 2 shown]
	s_waitcnt lgkmcnt(2)
	v_add_u32_e32 v30, v0, v30
	s_waitcnt lgkmcnt(1)
	v_add3_u32 v3, v34, v32, v1
	s_waitcnt lgkmcnt(0)
	v_add3_u32 v2, v6, v35, v2
                                        ; implicit-def: $vgpr6
                                        ; implicit-def: $vgpr1
	s_cbranch_vccnz .LBB44_5
; %bb.19:                               ;   in Loop: Header=BB44_6 Depth=2
	v_lshlrev_b32_e32 v0, 2, v30
	s_barrier
	ds_write_b32 v0, v29
	v_lshlrev_b32_e32 v0, 2, v3
	ds_write_b32 v0, v27
	v_lshlrev_b32_e32 v0, 2, v2
	ds_write_b32 v0, v26
	s_waitcnt lgkmcnt(0)
	s_barrier
	ds_read2st64_b32 v[0:1], v19 offset1:1
	ds_read_b32 v6, v19 offset:512
	v_add_u32_e32 v28, 8, v28
	s_mov_b64 s[34:35], 0
	s_waitcnt lgkmcnt(0)
	s_barrier
	s_branch .LBB44_5
.LBB44_20:                              ;   in Loop: Header=BB44_2 Depth=1
	v_lshlrev_b32_e32 v0, 2, v30
	s_barrier
	ds_write_b32 v0, v29
	v_lshlrev_b32_e32 v0, 2, v3
	ds_write_b32 v0, v27
	v_lshlrev_b32_e32 v0, 2, v2
	ds_write_b32 v0, v26
	s_waitcnt lgkmcnt(0)
	s_barrier
	ds_read2_b32 v[0:1], v22 offset1:1
	ds_read_b32 v2, v22 offset:8
	s_waitcnt lgkmcnt(0)
	s_barrier
	s_and_saveexec_b64 s[34:35], s[0:1]
; %bb.21:                               ;   in Loop: Header=BB44_2 Depth=1
	v_mov_b32_e32 v3, 0x600
	ds_write2st64_b32 v24, v3, v3 offset0:16 offset1:24
; %bb.22:                               ;   in Loop: Header=BB44_2 Depth=1
	s_or_b64 exec, exec, s[34:35]
	v_xor_b32_e32 v6, 0x80000000, v2
	v_xor_b32_e32 v3, 0x80000000, v1
	v_cmp_ne_u32_e32 vcc, v1, v2
	v_mov_b32_e32 v1, v6
	s_waitcnt lgkmcnt(0)
	s_barrier
	ds_write_b32 v13, v6
	s_and_saveexec_b64 s[34:35], vcc
	s_cbranch_execz .LBB44_24
; %bb.23:                               ;   in Loop: Header=BB44_2 Depth=1
	v_lshlrev_b32_e32 v1, 2, v6
	v_lshlrev_b32_e32 v2, 2, v3
	ds_write_b32 v1, v15 offset:4096
	ds_write_b32 v2, v15 offset:6144
	v_mov_b32_e32 v1, v3
.LBB44_24:                              ;   in Loop: Header=BB44_2 Depth=1
	s_or_b64 exec, exec, s[34:35]
	v_xor_b32_e32 v26, 0x80000000, v0
	v_cmp_ne_u32_e32 vcc, v26, v1
	v_lshlrev_b32_e32 v0, 2, v26
	s_and_saveexec_b64 s[34:35], vcc
	s_cbranch_execz .LBB44_26
; %bb.25:                               ;   in Loop: Header=BB44_2 Depth=1
	v_lshlrev_b32_e32 v1, 2, v1
	ds_write_b32 v1, v16 offset:4096
	ds_write_b32 v0, v16 offset:6144
.LBB44_26:                              ;   in Loop: Header=BB44_2 Depth=1
	s_or_b64 exec, exec, s[34:35]
	s_waitcnt lgkmcnt(0)
	s_barrier
	s_and_saveexec_b64 s[34:35], s[22:23]
	s_cbranch_execz .LBB44_29
; %bb.27:                               ;   in Loop: Header=BB44_2 Depth=1
	v_add_u32_e32 v1, -4, v13
	ds_read_b32 v1, v1
	s_waitcnt lgkmcnt(0)
	v_cmp_ne_u32_e32 vcc, v1, v26
	s_and_b64 exec, exec, vcc
	s_cbranch_execz .LBB44_29
; %bb.28:                               ;   in Loop: Header=BB44_2 Depth=1
	v_lshlrev_b32_e32 v1, 2, v1
	ds_write_b32 v0, v14 offset:4096
	ds_write_b32 v1, v14 offset:6144
.LBB44_29:                              ;   in Loop: Header=BB44_2 Depth=1
	s_or_b64 exec, exec, s[34:35]
	s_waitcnt lgkmcnt(0)
	s_barrier
	s_and_saveexec_b64 s[34:35], s[20:21]
; %bb.30:                               ;   in Loop: Header=BB44_2 Depth=1
	ds_write_b32 v0, v5 offset:4096
; %bb.31:                               ;   in Loop: Header=BB44_2 Depth=1
	s_or_b64 exec, exec, s[34:35]
	s_waitcnt lgkmcnt(0)
	s_barrier
	s_and_saveexec_b64 s[34:35], s[0:1]
	s_cbranch_execz .LBB44_1
; %bb.32:                               ;   in Loop: Header=BB44_2 Depth=1
	ds_read2st64_b32 v[0:1], v24 offset0:16 offset1:24
	ds_read_b32 v2, v12
	s_waitcnt lgkmcnt(1)
	v_sub_u32_e32 v0, v1, v0
	s_waitcnt lgkmcnt(0)
	v_add_u32_e32 v0, v0, v2
	ds_write_b32 v12, v0
	s_branch .LBB44_1
.LBB44_33:
	s_and_saveexec_b64 s[2:3], s[0:1]
	s_cbranch_execz .LBB44_35
; %bb.34:
	v_mov_b32_e32 v5, 0
	ds_read_b32 v3, v12
	v_lshlrev_b64 v[0:1], 2, v[4:5]
	v_mov_b32_e32 v2, s39
	v_add_co_u32_e32 v0, vcc, s38, v0
	v_addc_co_u32_e32 v1, vcc, v2, v1, vcc
	s_waitcnt lgkmcnt(0)
	global_store_dword v[0:1], v3, off
.LBB44_35:
	s_endpgm
	.section	.rodata,"a",@progbits
	.p2align	6, 0x0
	.amdhsa_kernel _Z6kernelI9histogramILN6hipcub23BlockHistogramAlgorithmE1EEiLj512ELj3ELj512ELj100EEvPKT0_PS4_
		.amdhsa_group_segment_fixed_size 10272
		.amdhsa_private_segment_fixed_size 0
		.amdhsa_kernarg_size 272
		.amdhsa_user_sgpr_count 6
		.amdhsa_user_sgpr_private_segment_buffer 1
		.amdhsa_user_sgpr_dispatch_ptr 0
		.amdhsa_user_sgpr_queue_ptr 0
		.amdhsa_user_sgpr_kernarg_segment_ptr 1
		.amdhsa_user_sgpr_dispatch_id 0
		.amdhsa_user_sgpr_flat_scratch_init 0
		.amdhsa_user_sgpr_private_segment_size 0
		.amdhsa_uses_dynamic_stack 0
		.amdhsa_system_sgpr_private_segment_wavefront_offset 0
		.amdhsa_system_sgpr_workgroup_id_x 1
		.amdhsa_system_sgpr_workgroup_id_y 0
		.amdhsa_system_sgpr_workgroup_id_z 0
		.amdhsa_system_sgpr_workgroup_info 0
		.amdhsa_system_vgpr_workitem_id 2
		.amdhsa_next_free_vgpr 39
		.amdhsa_next_free_sgpr 42
		.amdhsa_reserve_vcc 1
		.amdhsa_reserve_flat_scratch 0
		.amdhsa_float_round_mode_32 0
		.amdhsa_float_round_mode_16_64 0
		.amdhsa_float_denorm_mode_32 3
		.amdhsa_float_denorm_mode_16_64 3
		.amdhsa_dx10_clamp 1
		.amdhsa_ieee_mode 1
		.amdhsa_fp16_overflow 0
		.amdhsa_exception_fp_ieee_invalid_op 0
		.amdhsa_exception_fp_denorm_src 0
		.amdhsa_exception_fp_ieee_div_zero 0
		.amdhsa_exception_fp_ieee_overflow 0
		.amdhsa_exception_fp_ieee_underflow 0
		.amdhsa_exception_fp_ieee_inexact 0
		.amdhsa_exception_int_div_zero 0
	.end_amdhsa_kernel
	.section	.text._Z6kernelI9histogramILN6hipcub23BlockHistogramAlgorithmE1EEiLj512ELj3ELj512ELj100EEvPKT0_PS4_,"axG",@progbits,_Z6kernelI9histogramILN6hipcub23BlockHistogramAlgorithmE1EEiLj512ELj3ELj512ELj100EEvPKT0_PS4_,comdat
.Lfunc_end44:
	.size	_Z6kernelI9histogramILN6hipcub23BlockHistogramAlgorithmE1EEiLj512ELj3ELj512ELj100EEvPKT0_PS4_, .Lfunc_end44-_Z6kernelI9histogramILN6hipcub23BlockHistogramAlgorithmE1EEiLj512ELj3ELj512ELj100EEvPKT0_PS4_
                                        ; -- End function
	.set _Z6kernelI9histogramILN6hipcub23BlockHistogramAlgorithmE1EEiLj512ELj3ELj512ELj100EEvPKT0_PS4_.num_vgpr, 39
	.set _Z6kernelI9histogramILN6hipcub23BlockHistogramAlgorithmE1EEiLj512ELj3ELj512ELj100EEvPKT0_PS4_.num_agpr, 0
	.set _Z6kernelI9histogramILN6hipcub23BlockHistogramAlgorithmE1EEiLj512ELj3ELj512ELj100EEvPKT0_PS4_.numbered_sgpr, 42
	.set _Z6kernelI9histogramILN6hipcub23BlockHistogramAlgorithmE1EEiLj512ELj3ELj512ELj100EEvPKT0_PS4_.num_named_barrier, 0
	.set _Z6kernelI9histogramILN6hipcub23BlockHistogramAlgorithmE1EEiLj512ELj3ELj512ELj100EEvPKT0_PS4_.private_seg_size, 0
	.set _Z6kernelI9histogramILN6hipcub23BlockHistogramAlgorithmE1EEiLj512ELj3ELj512ELj100EEvPKT0_PS4_.uses_vcc, 1
	.set _Z6kernelI9histogramILN6hipcub23BlockHistogramAlgorithmE1EEiLj512ELj3ELj512ELj100EEvPKT0_PS4_.uses_flat_scratch, 0
	.set _Z6kernelI9histogramILN6hipcub23BlockHistogramAlgorithmE1EEiLj512ELj3ELj512ELj100EEvPKT0_PS4_.has_dyn_sized_stack, 0
	.set _Z6kernelI9histogramILN6hipcub23BlockHistogramAlgorithmE1EEiLj512ELj3ELj512ELj100EEvPKT0_PS4_.has_recursion, 0
	.set _Z6kernelI9histogramILN6hipcub23BlockHistogramAlgorithmE1EEiLj512ELj3ELj512ELj100EEvPKT0_PS4_.has_indirect_call, 0
	.section	.AMDGPU.csdata,"",@progbits
; Kernel info:
; codeLenInByte = 2720
; TotalNumSgprs: 46
; NumVgprs: 39
; ScratchSize: 0
; MemoryBound: 0
; FloatMode: 240
; IeeeMode: 1
; LDSByteSize: 10272 bytes/workgroup (compile time only)
; SGPRBlocks: 5
; VGPRBlocks: 9
; NumSGPRsForWavesPerEU: 46
; NumVGPRsForWavesPerEU: 39
; Occupancy: 6
; WaveLimiterHint : 0
; COMPUTE_PGM_RSRC2:SCRATCH_EN: 0
; COMPUTE_PGM_RSRC2:USER_SGPR: 6
; COMPUTE_PGM_RSRC2:TRAP_HANDLER: 0
; COMPUTE_PGM_RSRC2:TGID_X_EN: 1
; COMPUTE_PGM_RSRC2:TGID_Y_EN: 0
; COMPUTE_PGM_RSRC2:TGID_Z_EN: 0
; COMPUTE_PGM_RSRC2:TIDIG_COMP_CNT: 2
	.section	.text._Z6kernelI9histogramILN6hipcub23BlockHistogramAlgorithmE1EEiLj512ELj4ELj512ELj100EEvPKT0_PS4_,"axG",@progbits,_Z6kernelI9histogramILN6hipcub23BlockHistogramAlgorithmE1EEiLj512ELj4ELj512ELj100EEvPKT0_PS4_,comdat
	.protected	_Z6kernelI9histogramILN6hipcub23BlockHistogramAlgorithmE1EEiLj512ELj4ELj512ELj100EEvPKT0_PS4_ ; -- Begin function _Z6kernelI9histogramILN6hipcub23BlockHistogramAlgorithmE1EEiLj512ELj4ELj512ELj100EEvPKT0_PS4_
	.globl	_Z6kernelI9histogramILN6hipcub23BlockHistogramAlgorithmE1EEiLj512ELj4ELj512ELj100EEvPKT0_PS4_
	.p2align	8
	.type	_Z6kernelI9histogramILN6hipcub23BlockHistogramAlgorithmE1EEiLj512ELj4ELj512ELj100EEvPKT0_PS4_,@function
_Z6kernelI9histogramILN6hipcub23BlockHistogramAlgorithmE1EEiLj512ELj4ELj512ELj100EEvPKT0_PS4_: ; @_Z6kernelI9histogramILN6hipcub23BlockHistogramAlgorithmE1EEiLj512ELj4ELj512ELj100EEvPKT0_PS4_
; %bb.0:
	s_load_dwordx4 s[44:47], s[4:5], 0x0
	s_load_dword s7, s[4:5], 0x1c
	v_lshlrev_b32_e32 v13, 2, v0
	v_mov_b32_e32 v7, 0
	v_lshl_or_b32 v3, s6, 11, v13
	v_mov_b32_e32 v4, v7
	v_lshlrev_b64 v[3:4], 2, v[3:4]
	s_waitcnt lgkmcnt(0)
	v_mov_b32_e32 v5, s45
	v_add_co_u32_e32 v3, vcc, s44, v3
	v_addc_co_u32_e32 v4, vcc, v5, v4, vcc
	global_load_dwordx4 v[3:6], v[3:4], off
	s_lshr_b32 s10, s7, 16
	v_mbcnt_lo_u32_b32 v8, -1, 0
	s_and_b32 s7, s7, 0xffff
	v_mad_u32_u24 v1, v2, s10, v1
	v_mbcnt_hi_u32_b32 v8, -1, v8
	v_mad_u64_u32 v[1:2], s[10:11], v1, s7, v[0:1]
	v_and_b32_e32 v2, 15, v8
	v_and_b32_e32 v10, 3, v8
	v_cmp_eq_u32_e64 s[10:11], 0, v2
	v_cmp_lt_u32_e64 s[12:13], 1, v2
	v_cmp_lt_u32_e64 s[14:15], 3, v2
	;; [unrolled: 1-line block ×3, first 2 shown]
	v_and_b32_e32 v2, 16, v8
	v_lshrrev_b32_e32 v9, 2, v8
	v_cmp_eq_u32_e64 s[2:3], 3, v10
	v_cmp_eq_u32_e64 s[4:5], 2, v10
	;; [unrolled: 1-line block ×4, first 2 shown]
	v_and_b32_e32 v10, 64, v8
	v_cmp_eq_u32_e64 s[18:19], 0, v2
	v_or_b32_e32 v2, 63, v0
	v_or_b32_e32 v11, v9, v10
	v_add_u32_e32 v9, 48, v9
	v_cmp_eq_u32_e64 s[22:23], v0, v2
	v_subrev_co_u32_e64 v2, s[28:29], 1, v8
	v_and_or_b32 v9, v9, 63, v10
	v_cmp_lt_i32_e32 vcc, v2, v10
	s_mov_b32 s48, 0
	v_lshlrev_b32_e32 v17, 2, v9
	v_lshlrev_b32_e32 v18, 4, v0
	v_cndmask_b32_e32 v2, v2, v8, vcc
	v_and_b32_e32 v9, 7, v8
	v_lshlrev_b32_e32 v19, 2, v2
	v_lshrrev_b32_e32 v2, 4, v0
	v_mad_i32_i24 v22, v0, -12, v18
	v_cmp_eq_u32_e64 s[36:37], 0, v9
	v_cmp_lt_u32_e64 s[38:39], 1, v9
	v_cmp_lt_u32_e64 s[40:41], 3, v9
	v_and_b32_e32 v9, 0x1c00, v18
	s_mov_b32 s44, s48
	s_movk_i32 s0, 0x200
	v_lshlrev_b32_e32 v14, 2, v11
	v_and_b32_e32 v21, 28, v2
	v_mul_i32_i24_e32 v2, -12, v0
	v_lshl_or_b32 v23, v8, 2, v9
	v_lshrrev_b32_e32 v1, 4, v1
	v_mad_u32_u24 v24, v0, 12, v22
	s_mov_b32 s49, s48
	s_mov_b32 s45, s48
	v_mov_b32_e32 v9, s48
	v_mov_b32_e32 v11, s44
	v_cmp_gt_u32_e64 s[0:1], s0, v0
	v_add_u32_e32 v15, 64, v14
	v_or_b32_e32 v16, 0x80, v14
	v_cmp_lt_u32_e64 s[20:21], 31, v8
	v_cmp_gt_u32_e64 s[24:25], 8, v0
	v_cmp_lt_u32_e64 s[26:27], 63, v0
	v_cmp_eq_u32_e64 s[30:31], 0, v0
	v_cmp_ne_u32_e64 s[34:35], 0, v0
	v_and_b32_e32 v25, 0xffffffc, v1
	v_add_u32_e32 v26, v24, v2
	v_add_u32_e32 v20, 0x2020, v13
	v_or_b32_e32 v27, 3, v13
	v_or_b32_e32 v28, 2, v13
	;; [unrolled: 1-line block ×3, first 2 shown]
	v_mov_b32_e32 v30, 0x800
	v_mov_b32_e32 v31, 5
	;; [unrolled: 1-line block ×4, first 2 shown]
	s_branch .LBB45_2
.LBB45_1:                               ;   in Loop: Header=BB45_2 Depth=1
	s_or_b64 exec, exec, s[44:45]
	s_add_i32 s48, s48, 1
	s_cmpk_eq_i32 s48, 0x64
	s_cbranch_scc1 .LBB45_37
.LBB45_2:                               ; =>This Loop Header: Depth=1
                                        ;     Child Loop BB45_6 Depth 2
	s_and_saveexec_b64 s[44:45], s[0:1]
; %bb.3:                                ;   in Loop: Header=BB45_2 Depth=1
	ds_write_b32 v20, v7
; %bb.4:                                ;   in Loop: Header=BB45_2 Depth=1
	s_or_b64 exec, exec, s[44:45]
	s_waitcnt vmcnt(0)
	v_xor_b32_e32 v3, 0x80000000, v3
	ds_bpermute_b32 v1, v14, v3
	v_xor_b32_e32 v4, 0x80000000, v4
	v_xor_b32_e32 v5, 0x80000000, v5
	ds_bpermute_b32 v2, v14, v4
	v_xor_b32_e32 v6, 0x80000000, v6
	ds_bpermute_b32 v8, v14, v5
	ds_bpermute_b32 v32, v14, v6
	;; [unrolled: 1-line block ×3, first 2 shown]
	s_waitcnt lgkmcnt(4)
	v_cndmask_b32_e64 v1, 0, v1, s[8:9]
	ds_bpermute_b32 v34, v15, v4
	s_waitcnt lgkmcnt(4)
	v_cndmask_b32_e64 v1, v1, v2, s[42:43]
	s_waitcnt lgkmcnt(3)
	v_cndmask_b32_e64 v1, v1, v8, s[4:5]
	ds_bpermute_b32 v8, v15, v5
	s_waitcnt lgkmcnt(3)
	v_cndmask_b32_e64 v1, v1, v32, s[2:3]
	s_waitcnt lgkmcnt(2)
	v_cndmask_b32_e64 v2, 0, v33, s[8:9]
	ds_bpermute_b32 v32, v15, v6
	ds_bpermute_b32 v33, v16, v3
	s_waitcnt lgkmcnt(3)
	v_cndmask_b32_e64 v2, v2, v34, s[42:43]
	ds_bpermute_b32 v34, v16, v4
	ds_bpermute_b32 v35, v16, v5
	s_waitcnt lgkmcnt(4)
	v_cndmask_b32_e64 v2, v2, v8, s[4:5]
	s_waitcnt lgkmcnt(3)
	v_cndmask_b32_e64 v2, v2, v32, s[2:3]
	;; [unrolled: 2-line block ×3, first 2 shown]
	ds_bpermute_b32 v32, v16, v6
	ds_bpermute_b32 v33, v17, v3
	;; [unrolled: 1-line block ×4, first 2 shown]
	s_waitcnt lgkmcnt(5)
	v_cndmask_b32_e64 v8, v8, v34, s[42:43]
	ds_bpermute_b32 v6, v17, v6
	s_waitcnt lgkmcnt(5)
	v_cndmask_b32_e64 v8, v8, v35, s[4:5]
	s_waitcnt lgkmcnt(4)
	v_cndmask_b32_e64 v3, v8, v32, s[2:3]
	;; [unrolled: 2-line block ×6, first 2 shown]
	v_mov_b32_e32 v32, 0
	s_barrier
	s_barrier
	s_branch .LBB45_6
.LBB45_5:                               ;   in Loop: Header=BB45_6 Depth=2
	s_andn2_b64 vcc, exec, s[44:45]
	s_cbranch_vccz .LBB45_22
.LBB45_6:                               ;   Parent Loop BB45_2 Depth=1
                                        ; =>  This Inner Loop Header: Depth=2
	v_mov_b32_e32 v34, v1
	v_lshrrev_b32_e32 v1, v32, v34
	v_mov_b32_e32 v33, v2
	v_and_b32_e32 v2, 1, v1
	v_mov_b32_e32 v5, v4
	v_add_co_u32_e32 v4, vcc, -1, v2
	v_addc_co_u32_e64 v8, s[44:45], 0, -1, vcc
	v_cmp_ne_u32_e32 vcc, 0, v2
	v_xor_b32_e32 v2, vcc_hi, v8
	v_lshlrev_b32_e32 v8, 30, v1
	v_xor_b32_e32 v4, vcc_lo, v4
	v_cmp_gt_i64_e32 vcc, 0, v[7:8]
	v_not_b32_e32 v8, v8
	v_ashrrev_i32_e32 v8, 31, v8
	v_and_b32_e32 v4, exec_lo, v4
	v_xor_b32_e32 v35, vcc_hi, v8
	v_xor_b32_e32 v8, vcc_lo, v8
	v_and_b32_e32 v4, v4, v8
	v_lshlrev_b32_e32 v8, 29, v1
	v_cmp_gt_i64_e32 vcc, 0, v[7:8]
	v_not_b32_e32 v8, v8
	v_and_b32_e32 v2, exec_hi, v2
	v_ashrrev_i32_e32 v8, 31, v8
	v_and_b32_e32 v2, v2, v35
	v_xor_b32_e32 v35, vcc_hi, v8
	v_xor_b32_e32 v8, vcc_lo, v8
	v_and_b32_e32 v4, v4, v8
	v_lshlrev_b32_e32 v8, 28, v1
	v_cmp_gt_i64_e32 vcc, 0, v[7:8]
	v_not_b32_e32 v8, v8
	v_ashrrev_i32_e32 v8, 31, v8
	v_and_b32_e32 v2, v2, v35
	v_xor_b32_e32 v35, vcc_hi, v8
	v_xor_b32_e32 v8, vcc_lo, v8
	v_and_b32_e32 v4, v4, v8
	v_lshlrev_b32_e32 v8, 27, v1
	v_cmp_gt_i64_e32 vcc, 0, v[7:8]
	v_not_b32_e32 v8, v8
	;; [unrolled: 8-line block ×4, first 2 shown]
	v_ashrrev_i32_e32 v8, 31, v8
	v_and_b32_e32 v2, v2, v35
	v_xor_b32_e32 v35, vcc_hi, v8
	v_xor_b32_e32 v8, vcc_lo, v8
	v_and_b32_e32 v4, v4, v8
	v_lshlrev_b32_e32 v8, 24, v1
	v_mov_b32_e32 v6, v3
	v_lshlrev_b32_sdwa v3, v31, v1 dst_sel:DWORD dst_unused:UNUSED_PAD src0_sel:DWORD src1_sel:BYTE_0
	v_cmp_gt_i64_e32 vcc, 0, v[7:8]
	v_not_b32_e32 v1, v8
	v_ashrrev_i32_e32 v1, 31, v1
	v_xor_b32_e32 v8, vcc_hi, v1
	v_xor_b32_e32 v1, vcc_lo, v1
	v_and_b32_e32 v2, v2, v35
	v_and_b32_e32 v1, v4, v1
	;; [unrolled: 1-line block ×3, first 2 shown]
	v_mbcnt_lo_u32_b32 v4, v1, 0
	v_mbcnt_hi_u32_b32 v35, v2, v4
	v_cmp_ne_u64_e32 vcc, 0, v[1:2]
	v_cmp_eq_u32_e64 s[44:45], 0, v35
	s_and_b64 s[50:51], vcc, s[44:45]
	v_add_u32_e32 v36, v25, v3
	ds_write2_b64 v18, v[9:10], v[11:12] offset0:4 offset1:5
	s_waitcnt lgkmcnt(0)
	s_barrier
	; wave barrier
	s_and_saveexec_b64 s[44:45], s[50:51]
; %bb.7:                                ;   in Loop: Header=BB45_6 Depth=2
	v_bcnt_u32_b32 v1, v1, 0
	v_bcnt_u32_b32 v1, v2, v1
	ds_write_b32 v36, v1 offset:32
; %bb.8:                                ;   in Loop: Header=BB45_6 Depth=2
	s_or_b64 exec, exec, s[44:45]
	v_lshrrev_b32_e32 v1, v32, v33
	v_lshlrev_b32_sdwa v2, v31, v1 dst_sel:DWORD dst_unused:UNUSED_PAD src0_sel:DWORD src1_sel:BYTE_0
	v_add_u32_e32 v38, v25, v2
	v_and_b32_e32 v2, 1, v1
	v_add_co_u32_e32 v3, vcc, -1, v2
	v_addc_co_u32_e64 v4, s[44:45], 0, -1, vcc
	v_cmp_ne_u32_e32 vcc, 0, v2
	v_lshlrev_b32_e32 v8, 30, v1
	v_xor_b32_e32 v2, vcc_hi, v4
	v_xor_b32_e32 v3, vcc_lo, v3
	v_cmp_gt_i64_e32 vcc, 0, v[7:8]
	v_not_b32_e32 v4, v8
	v_ashrrev_i32_e32 v4, 31, v4
	v_and_b32_e32 v2, exec_hi, v2
	v_xor_b32_e32 v8, vcc_hi, v4
	v_and_b32_e32 v3, exec_lo, v3
	v_xor_b32_e32 v4, vcc_lo, v4
	v_and_b32_e32 v2, v2, v8
	v_lshlrev_b32_e32 v8, 29, v1
	v_and_b32_e32 v3, v3, v4
	v_cmp_gt_i64_e32 vcc, 0, v[7:8]
	v_not_b32_e32 v4, v8
	v_ashrrev_i32_e32 v4, 31, v4
	v_xor_b32_e32 v8, vcc_hi, v4
	v_xor_b32_e32 v4, vcc_lo, v4
	v_and_b32_e32 v2, v2, v8
	v_lshlrev_b32_e32 v8, 28, v1
	v_and_b32_e32 v3, v3, v4
	v_cmp_gt_i64_e32 vcc, 0, v[7:8]
	v_not_b32_e32 v4, v8
	v_ashrrev_i32_e32 v4, 31, v4
	v_xor_b32_e32 v8, vcc_hi, v4
	;; [unrolled: 8-line block ×5, first 2 shown]
	v_and_b32_e32 v2, v2, v8
	v_lshlrev_b32_e32 v8, 24, v1
	v_xor_b32_e32 v4, vcc_lo, v4
	v_cmp_gt_i64_e32 vcc, 0, v[7:8]
	v_not_b32_e32 v1, v8
	v_ashrrev_i32_e32 v1, 31, v1
	v_and_b32_e32 v3, v3, v4
	v_xor_b32_e32 v4, vcc_hi, v1
	v_xor_b32_e32 v1, vcc_lo, v1
	; wave barrier
	ds_read_b32 v37, v38 offset:32
	v_and_b32_e32 v1, v3, v1
	v_and_b32_e32 v2, v2, v4
	v_mbcnt_lo_u32_b32 v3, v1, 0
	v_mbcnt_hi_u32_b32 v39, v2, v3
	v_cmp_ne_u64_e32 vcc, 0, v[1:2]
	v_cmp_eq_u32_e64 s[44:45], 0, v39
	s_and_b64 s[50:51], vcc, s[44:45]
	; wave barrier
	s_and_saveexec_b64 s[44:45], s[50:51]
	s_cbranch_execz .LBB45_10
; %bb.9:                                ;   in Loop: Header=BB45_6 Depth=2
	v_bcnt_u32_b32 v1, v1, 0
	v_bcnt_u32_b32 v1, v2, v1
	s_waitcnt lgkmcnt(0)
	v_add_u32_e32 v1, v37, v1
	ds_write_b32 v38, v1 offset:32
.LBB45_10:                              ;   in Loop: Header=BB45_6 Depth=2
	s_or_b64 exec, exec, s[44:45]
	v_lshrrev_b32_e32 v1, v32, v6
	v_lshlrev_b32_sdwa v2, v31, v1 dst_sel:DWORD dst_unused:UNUSED_PAD src0_sel:DWORD src1_sel:BYTE_0
	v_add_u32_e32 v41, v25, v2
	v_and_b32_e32 v2, 1, v1
	v_add_co_u32_e32 v3, vcc, -1, v2
	v_addc_co_u32_e64 v4, s[44:45], 0, -1, vcc
	v_cmp_ne_u32_e32 vcc, 0, v2
	v_lshlrev_b32_e32 v8, 30, v1
	v_xor_b32_e32 v2, vcc_hi, v4
	v_xor_b32_e32 v3, vcc_lo, v3
	v_cmp_gt_i64_e32 vcc, 0, v[7:8]
	v_not_b32_e32 v4, v8
	v_ashrrev_i32_e32 v4, 31, v4
	v_and_b32_e32 v2, exec_hi, v2
	v_xor_b32_e32 v8, vcc_hi, v4
	v_and_b32_e32 v3, exec_lo, v3
	v_xor_b32_e32 v4, vcc_lo, v4
	v_and_b32_e32 v2, v2, v8
	v_lshlrev_b32_e32 v8, 29, v1
	v_and_b32_e32 v3, v3, v4
	v_cmp_gt_i64_e32 vcc, 0, v[7:8]
	v_not_b32_e32 v4, v8
	v_ashrrev_i32_e32 v4, 31, v4
	v_xor_b32_e32 v8, vcc_hi, v4
	v_xor_b32_e32 v4, vcc_lo, v4
	v_and_b32_e32 v2, v2, v8
	v_lshlrev_b32_e32 v8, 28, v1
	v_and_b32_e32 v3, v3, v4
	v_cmp_gt_i64_e32 vcc, 0, v[7:8]
	v_not_b32_e32 v4, v8
	v_ashrrev_i32_e32 v4, 31, v4
	v_xor_b32_e32 v8, vcc_hi, v4
	;; [unrolled: 8-line block ×5, first 2 shown]
	v_and_b32_e32 v2, v2, v8
	v_lshlrev_b32_e32 v8, 24, v1
	v_xor_b32_e32 v4, vcc_lo, v4
	v_cmp_gt_i64_e32 vcc, 0, v[7:8]
	v_not_b32_e32 v1, v8
	v_ashrrev_i32_e32 v1, 31, v1
	v_and_b32_e32 v3, v3, v4
	v_xor_b32_e32 v4, vcc_hi, v1
	v_xor_b32_e32 v1, vcc_lo, v1
	; wave barrier
	ds_read_b32 v40, v41 offset:32
	v_and_b32_e32 v1, v3, v1
	v_and_b32_e32 v2, v2, v4
	v_mbcnt_lo_u32_b32 v3, v1, 0
	v_mbcnt_hi_u32_b32 v42, v2, v3
	v_cmp_ne_u64_e32 vcc, 0, v[1:2]
	v_cmp_eq_u32_e64 s[44:45], 0, v42
	s_and_b64 s[50:51], vcc, s[44:45]
	; wave barrier
	s_and_saveexec_b64 s[44:45], s[50:51]
	s_cbranch_execz .LBB45_12
; %bb.11:                               ;   in Loop: Header=BB45_6 Depth=2
	v_bcnt_u32_b32 v1, v1, 0
	v_bcnt_u32_b32 v1, v2, v1
	s_waitcnt lgkmcnt(0)
	v_add_u32_e32 v1, v40, v1
	ds_write_b32 v41, v1 offset:32
.LBB45_12:                              ;   in Loop: Header=BB45_6 Depth=2
	s_or_b64 exec, exec, s[44:45]
	v_lshrrev_b32_e32 v1, v32, v5
	v_lshlrev_b32_sdwa v2, v31, v1 dst_sel:DWORD dst_unused:UNUSED_PAD src0_sel:DWORD src1_sel:BYTE_0
	v_add_u32_e32 v44, v25, v2
	v_and_b32_e32 v2, 1, v1
	v_add_co_u32_e32 v3, vcc, -1, v2
	v_addc_co_u32_e64 v4, s[44:45], 0, -1, vcc
	v_cmp_ne_u32_e32 vcc, 0, v2
	v_lshlrev_b32_e32 v8, 30, v1
	v_xor_b32_e32 v2, vcc_hi, v4
	v_xor_b32_e32 v3, vcc_lo, v3
	v_cmp_gt_i64_e32 vcc, 0, v[7:8]
	v_not_b32_e32 v4, v8
	v_ashrrev_i32_e32 v4, 31, v4
	v_and_b32_e32 v2, exec_hi, v2
	v_xor_b32_e32 v8, vcc_hi, v4
	v_and_b32_e32 v3, exec_lo, v3
	v_xor_b32_e32 v4, vcc_lo, v4
	v_and_b32_e32 v2, v2, v8
	v_lshlrev_b32_e32 v8, 29, v1
	v_and_b32_e32 v3, v3, v4
	v_cmp_gt_i64_e32 vcc, 0, v[7:8]
	v_not_b32_e32 v4, v8
	v_ashrrev_i32_e32 v4, 31, v4
	v_xor_b32_e32 v8, vcc_hi, v4
	v_xor_b32_e32 v4, vcc_lo, v4
	v_and_b32_e32 v2, v2, v8
	v_lshlrev_b32_e32 v8, 28, v1
	v_and_b32_e32 v3, v3, v4
	v_cmp_gt_i64_e32 vcc, 0, v[7:8]
	v_not_b32_e32 v4, v8
	v_ashrrev_i32_e32 v4, 31, v4
	v_xor_b32_e32 v8, vcc_hi, v4
	;; [unrolled: 8-line block ×5, first 2 shown]
	v_and_b32_e32 v2, v2, v8
	v_lshlrev_b32_e32 v8, 24, v1
	v_xor_b32_e32 v4, vcc_lo, v4
	v_cmp_gt_i64_e32 vcc, 0, v[7:8]
	v_not_b32_e32 v1, v8
	v_ashrrev_i32_e32 v1, 31, v1
	v_and_b32_e32 v3, v3, v4
	v_xor_b32_e32 v4, vcc_hi, v1
	v_xor_b32_e32 v1, vcc_lo, v1
	; wave barrier
	ds_read_b32 v43, v44 offset:32
	v_and_b32_e32 v1, v3, v1
	v_and_b32_e32 v2, v2, v4
	v_mbcnt_lo_u32_b32 v3, v1, 0
	v_mbcnt_hi_u32_b32 v8, v2, v3
	v_cmp_ne_u64_e32 vcc, 0, v[1:2]
	v_cmp_eq_u32_e64 s[44:45], 0, v8
	s_and_b64 s[50:51], vcc, s[44:45]
	; wave barrier
	s_and_saveexec_b64 s[44:45], s[50:51]
	s_cbranch_execz .LBB45_14
; %bb.13:                               ;   in Loop: Header=BB45_6 Depth=2
	v_bcnt_u32_b32 v1, v1, 0
	v_bcnt_u32_b32 v1, v2, v1
	s_waitcnt lgkmcnt(0)
	v_add_u32_e32 v1, v43, v1
	ds_write_b32 v44, v1 offset:32
.LBB45_14:                              ;   in Loop: Header=BB45_6 Depth=2
	s_or_b64 exec, exec, s[44:45]
	; wave barrier
	s_waitcnt lgkmcnt(0)
	s_barrier
	ds_read2_b64 v[1:4], v18 offset0:4 offset1:5
	s_waitcnt lgkmcnt(0)
	v_add_u32_e32 v45, v2, v1
	v_add3_u32 v4, v45, v3, v4
	s_nop 1
	v_mov_b32_dpp v45, v4 row_shr:1 row_mask:0xf bank_mask:0xf
	v_cndmask_b32_e64 v45, v45, 0, s[10:11]
	v_add_u32_e32 v4, v45, v4
	s_nop 1
	v_mov_b32_dpp v45, v4 row_shr:2 row_mask:0xf bank_mask:0xf
	v_cndmask_b32_e64 v45, 0, v45, s[12:13]
	v_add_u32_e32 v4, v4, v45
	;; [unrolled: 4-line block ×4, first 2 shown]
	s_nop 1
	v_mov_b32_dpp v45, v4 row_bcast:15 row_mask:0xf bank_mask:0xf
	v_cndmask_b32_e64 v45, v45, 0, s[18:19]
	v_add_u32_e32 v4, v4, v45
	s_nop 1
	v_mov_b32_dpp v45, v4 row_bcast:31 row_mask:0xf bank_mask:0xf
	v_cndmask_b32_e64 v45, 0, v45, s[20:21]
	v_add_u32_e32 v4, v4, v45
	s_and_saveexec_b64 s[44:45], s[22:23]
; %bb.15:                               ;   in Loop: Header=BB45_6 Depth=2
	ds_write_b32 v21, v4
; %bb.16:                               ;   in Loop: Header=BB45_6 Depth=2
	s_or_b64 exec, exec, s[44:45]
	s_waitcnt lgkmcnt(0)
	s_barrier
	s_and_saveexec_b64 s[44:45], s[24:25]
	s_cbranch_execz .LBB45_18
; %bb.17:                               ;   in Loop: Header=BB45_6 Depth=2
	ds_read_b32 v45, v22
	s_waitcnt lgkmcnt(0)
	s_nop 0
	v_mov_b32_dpp v46, v45 row_shr:1 row_mask:0xf bank_mask:0xf
	v_cndmask_b32_e64 v46, v46, 0, s[36:37]
	v_add_u32_e32 v45, v46, v45
	s_nop 1
	v_mov_b32_dpp v46, v45 row_shr:2 row_mask:0xf bank_mask:0xf
	v_cndmask_b32_e64 v46, 0, v46, s[38:39]
	v_add_u32_e32 v45, v45, v46
	;; [unrolled: 4-line block ×3, first 2 shown]
	ds_write_b32 v22, v45
.LBB45_18:                              ;   in Loop: Header=BB45_6 Depth=2
	s_or_b64 exec, exec, s[44:45]
	v_mov_b32_e32 v45, 0
	s_waitcnt lgkmcnt(0)
	s_barrier
	s_and_saveexec_b64 s[44:45], s[26:27]
; %bb.19:                               ;   in Loop: Header=BB45_6 Depth=2
	v_add_u32_e32 v45, -4, v21
	ds_read_b32 v45, v45
; %bb.20:                               ;   in Loop: Header=BB45_6 Depth=2
	s_or_b64 exec, exec, s[44:45]
	s_waitcnt lgkmcnt(0)
	v_add_u32_e32 v4, v45, v4
	ds_bpermute_b32 v4, v19, v4
	v_cmp_lt_u32_e32 vcc, 23, v32
	s_and_b64 vcc, exec, vcc
	s_mov_b64 s[44:45], -1
	s_waitcnt lgkmcnt(0)
	v_cndmask_b32_e64 v4, v4, v45, s[28:29]
	v_cndmask_b32_e64 v45, v4, 0, s[30:31]
	v_add_u32_e32 v46, v45, v1
	v_add_u32_e32 v1, v46, v2
	v_add_u32_e32 v2, v1, v3
	ds_write2_b64 v18, v[45:46], v[1:2] offset0:4 offset1:5
	s_waitcnt lgkmcnt(0)
	s_barrier
	ds_read_b32 v1, v36 offset:32
	ds_read_b32 v2, v38 offset:32
	;; [unrolled: 1-line block ×4, first 2 shown]
	s_waitcnt lgkmcnt(3)
	v_add_u32_e32 v38, v1, v35
	s_waitcnt lgkmcnt(2)
	v_add3_u32 v36, v39, v37, v2
	s_waitcnt lgkmcnt(1)
	v_add3_u32 v35, v42, v40, v3
	;; [unrolled: 2-line block ×3, first 2 shown]
                                        ; implicit-def: $vgpr4
                                        ; implicit-def: $vgpr2
	s_cbranch_vccnz .LBB45_5
; %bb.21:                               ;   in Loop: Header=BB45_6 Depth=2
	v_lshlrev_b32_e32 v1, 2, v38
	s_barrier
	ds_write_b32 v1, v34
	v_lshlrev_b32_e32 v1, 2, v36
	ds_write_b32 v1, v33
	v_lshlrev_b32_e32 v1, 2, v35
	ds_write_b32 v1, v6
	v_lshlrev_b32_e32 v1, 2, v8
	ds_write_b32 v1, v5
	s_waitcnt lgkmcnt(0)
	s_barrier
	ds_read2st64_b32 v[1:2], v23 offset1:1
	ds_read2st64_b32 v[3:4], v23 offset0:2 offset1:3
	v_add_u32_e32 v32, 8, v32
	s_mov_b64 s[44:45], 0
	s_waitcnt lgkmcnt(0)
	s_barrier
	s_branch .LBB45_5
.LBB45_22:                              ;   in Loop: Header=BB45_2 Depth=1
	v_lshlrev_b32_e32 v1, 2, v38
	s_barrier
	ds_write_b32 v1, v34
	v_lshlrev_b32_e32 v1, 2, v36
	ds_write_b32 v1, v33
	v_lshlrev_b32_e32 v1, 2, v35
	;; [unrolled: 2-line block ×3, first 2 shown]
	ds_write_b32 v1, v5
	s_waitcnt lgkmcnt(0)
	s_barrier
	ds_read2_b64 v[1:4], v24 offset1:1
	s_waitcnt lgkmcnt(0)
	s_barrier
	s_and_saveexec_b64 s[44:45], s[0:1]
; %bb.23:                               ;   in Loop: Header=BB45_2 Depth=1
	ds_write2st64_b32 v26, v30, v30 offset0:16 offset1:24
; %bb.24:                               ;   in Loop: Header=BB45_2 Depth=1
	s_or_b64 exec, exec, s[44:45]
	v_xor_b32_e32 v6, 0x80000000, v4
	v_xor_b32_e32 v5, 0x80000000, v3
	v_cmp_ne_u32_e32 vcc, v3, v4
	v_mov_b32_e32 v3, v6
	s_waitcnt lgkmcnt(0)
	s_barrier
	ds_write_b32 v22, v6
	s_and_saveexec_b64 s[44:45], vcc
	s_cbranch_execz .LBB45_26
; %bb.25:                               ;   in Loop: Header=BB45_2 Depth=1
	v_lshlrev_b32_e32 v3, 2, v6
	v_lshlrev_b32_e32 v4, 2, v5
	ds_write_b32 v3, v27 offset:4096
	ds_write_b32 v4, v27 offset:6144
	v_mov_b32_e32 v3, v5
.LBB45_26:                              ;   in Loop: Header=BB45_2 Depth=1
	s_or_b64 exec, exec, s[44:45]
	v_xor_b32_e32 v4, 0x80000000, v2
	v_cmp_ne_u32_e32 vcc, v4, v3
	v_lshlrev_b32_e32 v8, 2, v4
	s_and_saveexec_b64 s[44:45], vcc
	s_cbranch_execz .LBB45_28
; %bb.27:                               ;   in Loop: Header=BB45_2 Depth=1
	v_lshlrev_b32_e32 v3, 2, v3
	ds_write_b32 v3, v28 offset:4096
	ds_write_b32 v8, v28 offset:6144
.LBB45_28:                              ;   in Loop: Header=BB45_2 Depth=1
	s_or_b64 exec, exec, s[44:45]
	v_xor_b32_e32 v3, 0x80000000, v1
	v_cmp_ne_u32_e32 vcc, v1, v2
	v_lshlrev_b32_e32 v1, 2, v3
	s_and_saveexec_b64 s[44:45], vcc
	s_cbranch_execz .LBB45_30
; %bb.29:                               ;   in Loop: Header=BB45_2 Depth=1
	ds_write_b32 v8, v29 offset:4096
	ds_write_b32 v1, v29 offset:6144
.LBB45_30:                              ;   in Loop: Header=BB45_2 Depth=1
	s_or_b64 exec, exec, s[44:45]
	s_waitcnt lgkmcnt(0)
	s_barrier
	s_and_saveexec_b64 s[44:45], s[34:35]
	s_cbranch_execz .LBB45_33
; %bb.31:                               ;   in Loop: Header=BB45_2 Depth=1
	v_add_u32_e32 v2, -4, v22
	ds_read_b32 v2, v2
	s_waitcnt lgkmcnt(0)
	v_cmp_ne_u32_e32 vcc, v2, v3
	s_and_b64 exec, exec, vcc
	s_cbranch_execz .LBB45_33
; %bb.32:                               ;   in Loop: Header=BB45_2 Depth=1
	v_lshlrev_b32_e32 v2, 2, v2
	ds_write_b32 v1, v13 offset:4096
	ds_write_b32 v2, v13 offset:6144
.LBB45_33:                              ;   in Loop: Header=BB45_2 Depth=1
	s_or_b64 exec, exec, s[44:45]
	s_waitcnt lgkmcnt(0)
	s_barrier
	s_and_saveexec_b64 s[44:45], s[30:31]
; %bb.34:                               ;   in Loop: Header=BB45_2 Depth=1
	ds_write_b32 v1, v7 offset:4096
; %bb.35:                               ;   in Loop: Header=BB45_2 Depth=1
	s_or_b64 exec, exec, s[44:45]
	s_waitcnt lgkmcnt(0)
	s_barrier
	s_and_saveexec_b64 s[44:45], s[0:1]
	s_cbranch_execz .LBB45_1
; %bb.36:                               ;   in Loop: Header=BB45_2 Depth=1
	ds_read2st64_b32 v[1:2], v26 offset0:16 offset1:24
	ds_read_b32 v8, v20
	s_waitcnt lgkmcnt(1)
	v_sub_u32_e32 v1, v2, v1
	s_waitcnt lgkmcnt(0)
	v_add_u32_e32 v1, v1, v8
	ds_write_b32 v20, v1
	s_branch .LBB45_1
.LBB45_37:
	s_and_saveexec_b64 s[2:3], s[0:1]
	s_cbranch_execz .LBB45_39
; %bb.38:
	v_lshl_or_b32 v0, s6, 9, v0
	v_mov_b32_e32 v1, 0
	ds_read_b32 v3, v20
	v_lshlrev_b64 v[0:1], 2, v[0:1]
	v_mov_b32_e32 v2, s47
	v_add_co_u32_e32 v0, vcc, s46, v0
	v_addc_co_u32_e32 v1, vcc, v2, v1, vcc
	s_waitcnt lgkmcnt(0)
	global_store_dword v[0:1], v3, off
.LBB45_39:
	s_endpgm
	.section	.rodata,"a",@progbits
	.p2align	6, 0x0
	.amdhsa_kernel _Z6kernelI9histogramILN6hipcub23BlockHistogramAlgorithmE1EEiLj512ELj4ELj512ELj100EEvPKT0_PS4_
		.amdhsa_group_segment_fixed_size 10272
		.amdhsa_private_segment_fixed_size 0
		.amdhsa_kernarg_size 272
		.amdhsa_user_sgpr_count 6
		.amdhsa_user_sgpr_private_segment_buffer 1
		.amdhsa_user_sgpr_dispatch_ptr 0
		.amdhsa_user_sgpr_queue_ptr 0
		.amdhsa_user_sgpr_kernarg_segment_ptr 1
		.amdhsa_user_sgpr_dispatch_id 0
		.amdhsa_user_sgpr_flat_scratch_init 0
		.amdhsa_user_sgpr_private_segment_size 0
		.amdhsa_uses_dynamic_stack 0
		.amdhsa_system_sgpr_private_segment_wavefront_offset 0
		.amdhsa_system_sgpr_workgroup_id_x 1
		.amdhsa_system_sgpr_workgroup_id_y 0
		.amdhsa_system_sgpr_workgroup_id_z 0
		.amdhsa_system_sgpr_workgroup_info 0
		.amdhsa_system_vgpr_workitem_id 2
		.amdhsa_next_free_vgpr 47
		.amdhsa_next_free_sgpr 52
		.amdhsa_reserve_vcc 1
		.amdhsa_reserve_flat_scratch 0
		.amdhsa_float_round_mode_32 0
		.amdhsa_float_round_mode_16_64 0
		.amdhsa_float_denorm_mode_32 3
		.amdhsa_float_denorm_mode_16_64 3
		.amdhsa_dx10_clamp 1
		.amdhsa_ieee_mode 1
		.amdhsa_fp16_overflow 0
		.amdhsa_exception_fp_ieee_invalid_op 0
		.amdhsa_exception_fp_denorm_src 0
		.amdhsa_exception_fp_ieee_div_zero 0
		.amdhsa_exception_fp_ieee_overflow 0
		.amdhsa_exception_fp_ieee_underflow 0
		.amdhsa_exception_fp_ieee_inexact 0
		.amdhsa_exception_int_div_zero 0
	.end_amdhsa_kernel
	.section	.text._Z6kernelI9histogramILN6hipcub23BlockHistogramAlgorithmE1EEiLj512ELj4ELj512ELj100EEvPKT0_PS4_,"axG",@progbits,_Z6kernelI9histogramILN6hipcub23BlockHistogramAlgorithmE1EEiLj512ELj4ELj512ELj100EEvPKT0_PS4_,comdat
.Lfunc_end45:
	.size	_Z6kernelI9histogramILN6hipcub23BlockHistogramAlgorithmE1EEiLj512ELj4ELj512ELj100EEvPKT0_PS4_, .Lfunc_end45-_Z6kernelI9histogramILN6hipcub23BlockHistogramAlgorithmE1EEiLj512ELj4ELj512ELj100EEvPKT0_PS4_
                                        ; -- End function
	.set _Z6kernelI9histogramILN6hipcub23BlockHistogramAlgorithmE1EEiLj512ELj4ELj512ELj100EEvPKT0_PS4_.num_vgpr, 47
	.set _Z6kernelI9histogramILN6hipcub23BlockHistogramAlgorithmE1EEiLj512ELj4ELj512ELj100EEvPKT0_PS4_.num_agpr, 0
	.set _Z6kernelI9histogramILN6hipcub23BlockHistogramAlgorithmE1EEiLj512ELj4ELj512ELj100EEvPKT0_PS4_.numbered_sgpr, 52
	.set _Z6kernelI9histogramILN6hipcub23BlockHistogramAlgorithmE1EEiLj512ELj4ELj512ELj100EEvPKT0_PS4_.num_named_barrier, 0
	.set _Z6kernelI9histogramILN6hipcub23BlockHistogramAlgorithmE1EEiLj512ELj4ELj512ELj100EEvPKT0_PS4_.private_seg_size, 0
	.set _Z6kernelI9histogramILN6hipcub23BlockHistogramAlgorithmE1EEiLj512ELj4ELj512ELj100EEvPKT0_PS4_.uses_vcc, 1
	.set _Z6kernelI9histogramILN6hipcub23BlockHistogramAlgorithmE1EEiLj512ELj4ELj512ELj100EEvPKT0_PS4_.uses_flat_scratch, 0
	.set _Z6kernelI9histogramILN6hipcub23BlockHistogramAlgorithmE1EEiLj512ELj4ELj512ELj100EEvPKT0_PS4_.has_dyn_sized_stack, 0
	.set _Z6kernelI9histogramILN6hipcub23BlockHistogramAlgorithmE1EEiLj512ELj4ELj512ELj100EEvPKT0_PS4_.has_recursion, 0
	.set _Z6kernelI9histogramILN6hipcub23BlockHistogramAlgorithmE1EEiLj512ELj4ELj512ELj100EEvPKT0_PS4_.has_indirect_call, 0
	.section	.AMDGPU.csdata,"",@progbits
; Kernel info:
; codeLenInByte = 3416
; TotalNumSgprs: 56
; NumVgprs: 47
; ScratchSize: 0
; MemoryBound: 0
; FloatMode: 240
; IeeeMode: 1
; LDSByteSize: 10272 bytes/workgroup (compile time only)
; SGPRBlocks: 6
; VGPRBlocks: 11
; NumSGPRsForWavesPerEU: 56
; NumVGPRsForWavesPerEU: 47
; Occupancy: 5
; WaveLimiterHint : 0
; COMPUTE_PGM_RSRC2:SCRATCH_EN: 0
; COMPUTE_PGM_RSRC2:USER_SGPR: 6
; COMPUTE_PGM_RSRC2:TRAP_HANDLER: 0
; COMPUTE_PGM_RSRC2:TGID_X_EN: 1
; COMPUTE_PGM_RSRC2:TGID_Y_EN: 0
; COMPUTE_PGM_RSRC2:TGID_Z_EN: 0
; COMPUTE_PGM_RSRC2:TIDIG_COMP_CNT: 2
	.section	.text._Z6kernelI9histogramILN6hipcub23BlockHistogramAlgorithmE1EEiLj512ELj8ELj512ELj100EEvPKT0_PS4_,"axG",@progbits,_Z6kernelI9histogramILN6hipcub23BlockHistogramAlgorithmE1EEiLj512ELj8ELj512ELj100EEvPKT0_PS4_,comdat
	.protected	_Z6kernelI9histogramILN6hipcub23BlockHistogramAlgorithmE1EEiLj512ELj8ELj512ELj100EEvPKT0_PS4_ ; -- Begin function _Z6kernelI9histogramILN6hipcub23BlockHistogramAlgorithmE1EEiLj512ELj8ELj512ELj100EEvPKT0_PS4_
	.globl	_Z6kernelI9histogramILN6hipcub23BlockHistogramAlgorithmE1EEiLj512ELj8ELj512ELj100EEvPKT0_PS4_
	.p2align	8
	.type	_Z6kernelI9histogramILN6hipcub23BlockHistogramAlgorithmE1EEiLj512ELj8ELj512ELj100EEvPKT0_PS4_,@function
_Z6kernelI9histogramILN6hipcub23BlockHistogramAlgorithmE1EEiLj512ELj8ELj512ELj100EEvPKT0_PS4_: ; @_Z6kernelI9histogramILN6hipcub23BlockHistogramAlgorithmE1EEiLj512ELj8ELj512ELj100EEvPKT0_PS4_
; %bb.0:
	s_load_dwordx4 s[36:39], s[4:5], 0x0
	s_load_dword s2, s[4:5], 0x1c
	v_lshlrev_b32_e32 v21, 3, v0
	v_mov_b32_e32 v15, 0
	v_lshl_or_b32 v3, s6, 12, v21
	v_mov_b32_e32 v4, v15
	v_lshlrev_b64 v[3:4], 2, v[3:4]
	s_waitcnt lgkmcnt(0)
	v_mov_b32_e32 v5, s37
	v_add_co_u32_e32 v11, vcc, s36, v3
	v_addc_co_u32_e32 v12, vcc, v5, v4, vcc
	global_load_dwordx4 v[7:10], v[11:12], off
	global_load_dwordx4 v[3:6], v[11:12], off offset:16
	s_lshr_b32 s3, s2, 16
	v_mbcnt_lo_u32_b32 v11, -1, 0
	s_and_b32 s2, s2, 0xffff
	v_mad_u32_u24 v1, v2, s3, v1
	v_mbcnt_hi_u32_b32 v11, -1, v11
	v_mad_u64_u32 v[1:2], s[2:3], v1, s2, v[0:1]
	v_and_b32_e32 v2, 15, v11
	v_and_b32_e32 v12, 0x1c0, v0
	v_cmp_eq_u32_e64 s[2:3], 0, v2
	v_cmp_lt_u32_e64 s[4:5], 1, v2
	v_cmp_lt_u32_e64 s[34:35], 3, v2
	;; [unrolled: 1-line block ×3, first 2 shown]
	v_and_b32_e32 v2, 16, v11
	v_cmp_eq_u32_e64 s[10:11], 0, v2
	v_or_b32_e32 v2, 63, v12
	v_add_lshl_u32 v22, v11, v12, 5
	v_cmp_eq_u32_e64 s[14:15], v0, v2
	v_subrev_co_u32_e64 v2, s[20:21], 1, v11
	v_and_b32_e32 v12, 64, v11
	v_cmp_lt_i32_e32 vcc, v2, v12
	v_cndmask_b32_e32 v2, v2, v11, vcc
	v_lshlrev_b32_e32 v25, 2, v2
	v_lshrrev_b32_e32 v2, 4, v0
	s_mov_b32 s40, 0
	v_lshlrev_b32_e32 v24, 4, v0
	v_and_b32_e32 v26, 28, v2
	v_and_b32_e32 v2, 7, v11
	v_lshlrev_b32_e32 v13, 5, v0
	v_mad_i32_i24 v27, v0, -12, v24
	v_cmp_eq_u32_e64 s[26:27], 0, v2
	v_cmp_lt_u32_e64 s[28:29], 1, v2
	v_cmp_lt_u32_e64 s[30:31], 3, v2
	v_mov_b32_e32 v2, 0x4000
	s_mov_b32 s36, s40
	s_movk_i32 s0, 0x200
	v_and_b32_e32 v13, 0x3800, v13
	v_mad_u32_u24 v28, v0, 28, v27
	v_lshl_or_b32 v29, v0, 2, v2
	v_mul_i32_i24_e32 v2, 0xffffffe4, v0
	v_lshrrev_b32_e32 v1, 4, v1
	s_mov_b32 s41, s40
	s_mov_b32 s37, s40
	v_mov_b32_e32 v17, s40
	v_mov_b32_e32 v19, s36
	v_cmp_gt_u32_e64 s[0:1], s0, v0
	v_lshl_or_b32 v23, v11, 2, v13
	v_cmp_lt_u32_e64 s[12:13], 31, v11
	v_cmp_gt_u32_e64 s[16:17], 8, v0
	v_cmp_lt_u32_e64 s[18:19], 63, v0
	v_cmp_eq_u32_e64 s[22:23], 0, v0
	v_cmp_ne_u32_e64 s[24:25], 0, v0
	v_or_b32_e32 v30, 7, v21
	v_or_b32_e32 v31, 6, v21
	;; [unrolled: 1-line block ×7, first 2 shown]
	v_and_b32_e32 v37, 0xffffffc, v1
	v_mov_b32_e32 v18, s41
	v_mov_b32_e32 v38, 5
	v_add_u32_e32 v39, v28, v2
	v_mov_b32_e32 v20, s37
	s_branch .LBB46_2
.LBB46_1:                               ;   in Loop: Header=BB46_2 Depth=1
	s_or_b64 exec, exec, s[36:37]
	s_waitcnt lgkmcnt(0)
	s_barrier
	ds_read2st64_b32 v[1:2], v39 offset0:16 offset1:24
	ds_read_b32 v11, v29
	s_add_i32 s40, s40, 1
	s_cmpk_lg_i32 s40, 0x64
	s_waitcnt lgkmcnt(1)
	v_sub_u32_e32 v1, v2, v1
	s_waitcnt lgkmcnt(0)
	v_add_u32_e32 v1, v1, v11
	ds_write_b32 v29, v1
	s_cbranch_scc0 .LBB46_49
.LBB46_2:                               ; =>This Loop Header: Depth=1
                                        ;     Child Loop BB46_6 Depth 2
	s_and_saveexec_b64 s[36:37], s[0:1]
; %bb.3:                                ;   in Loop: Header=BB46_2 Depth=1
	ds_write_b32 v29, v15
; %bb.4:                                ;   in Loop: Header=BB46_2 Depth=1
	s_or_b64 exec, exec, s[36:37]
	s_waitcnt vmcnt(1)
	v_xor_b32_e32 v1, 0x80000000, v7
	v_xor_b32_e32 v2, 0x80000000, v8
	;; [unrolled: 1-line block ×4, first 2 shown]
	s_waitcnt vmcnt(0)
	v_xor_b32_e32 v3, 0x80000000, v3
	v_xor_b32_e32 v4, 0x80000000, v4
	;; [unrolled: 1-line block ×4, first 2 shown]
	s_waitcnt lgkmcnt(0)
	s_barrier
	ds_write2_b64 v22, v[1:2], v[7:8] offset1:1
	ds_write2_b64 v22, v[3:4], v[5:6] offset0:2 offset1:3
	; wave barrier
	ds_read2st64_b32 v[1:2], v23 offset1:1
	ds_read2st64_b32 v[3:4], v23 offset0:2 offset1:3
	ds_read2st64_b32 v[5:6], v23 offset0:4 offset1:5
	;; [unrolled: 1-line block ×3, first 2 shown]
	v_mov_b32_e32 v12, 0
	s_waitcnt lgkmcnt(0)
	s_barrier
	; wave barrier
	s_barrier
	s_branch .LBB46_6
.LBB46_5:                               ;   in Loop: Header=BB46_6 Depth=2
	s_andn2_b64 vcc, exec, s[36:37]
	s_cbranch_vccz .LBB46_30
.LBB46_6:                               ;   Parent Loop BB46_2 Depth=1
                                        ; =>  This Inner Loop Header: Depth=2
	v_mov_b32_e32 v42, v1
	v_lshrrev_b32_e32 v1, v12, v42
	v_mov_b32_e32 v41, v2
	v_and_b32_e32 v2, 1, v1
	v_mov_b32_e32 v14, v4
	v_add_co_u32_e32 v4, vcc, -1, v2
	v_mov_b32_e32 v13, v5
	v_addc_co_u32_e64 v5, s[36:37], 0, -1, vcc
	v_cmp_ne_u32_e32 vcc, 0, v2
	v_lshlrev_b32_e32 v16, 30, v1
	v_xor_b32_e32 v2, vcc_hi, v5
	v_xor_b32_e32 v4, vcc_lo, v4
	v_cmp_gt_i64_e32 vcc, 0, v[15:16]
	v_not_b32_e32 v5, v16
	v_ashrrev_i32_e32 v5, 31, v5
	v_mov_b32_e32 v11, v6
	v_and_b32_e32 v4, exec_lo, v4
	v_xor_b32_e32 v6, vcc_hi, v5
	v_xor_b32_e32 v5, vcc_lo, v5
	v_lshlrev_b32_e32 v16, 29, v1
	v_and_b32_e32 v4, v4, v5
	v_cmp_gt_i64_e32 vcc, 0, v[15:16]
	v_not_b32_e32 v5, v16
	v_and_b32_e32 v2, exec_hi, v2
	v_ashrrev_i32_e32 v5, 31, v5
	v_and_b32_e32 v2, v2, v6
	v_xor_b32_e32 v6, vcc_hi, v5
	v_xor_b32_e32 v5, vcc_lo, v5
	v_lshlrev_b32_e32 v16, 28, v1
	v_and_b32_e32 v4, v4, v5
	v_cmp_gt_i64_e32 vcc, 0, v[15:16]
	v_not_b32_e32 v5, v16
	v_ashrrev_i32_e32 v5, 31, v5
	v_and_b32_e32 v2, v2, v6
	v_xor_b32_e32 v6, vcc_hi, v5
	v_xor_b32_e32 v5, vcc_lo, v5
	v_lshlrev_b32_e32 v16, 27, v1
	v_and_b32_e32 v4, v4, v5
	v_cmp_gt_i64_e32 vcc, 0, v[15:16]
	v_not_b32_e32 v5, v16
	;; [unrolled: 8-line block ×4, first 2 shown]
	v_ashrrev_i32_e32 v5, 31, v5
	v_lshlrev_b32_e32 v16, 24, v1
	v_mov_b32_e32 v40, v3
	v_lshlrev_b32_sdwa v3, v38, v1 dst_sel:DWORD dst_unused:UNUSED_PAD src0_sel:DWORD src1_sel:BYTE_0
	v_and_b32_e32 v2, v2, v6
	v_xor_b32_e32 v6, vcc_hi, v5
	v_xor_b32_e32 v5, vcc_lo, v5
	v_cmp_gt_i64_e32 vcc, 0, v[15:16]
	v_not_b32_e32 v1, v16
	v_ashrrev_i32_e32 v1, 31, v1
	v_and_b32_e32 v4, v4, v5
	v_xor_b32_e32 v5, vcc_hi, v1
	v_xor_b32_e32 v1, vcc_lo, v1
	v_and_b32_e32 v2, v2, v6
	v_and_b32_e32 v1, v4, v1
	;; [unrolled: 1-line block ×3, first 2 shown]
	v_mbcnt_lo_u32_b32 v4, v1, 0
	v_mbcnt_hi_u32_b32 v5, v2, v4
	v_cmp_ne_u64_e32 vcc, 0, v[1:2]
	v_cmp_eq_u32_e64 s[36:37], 0, v5
	v_mov_b32_e32 v9, v8
	v_mov_b32_e32 v10, v7
	s_and_b64 s[42:43], vcc, s[36:37]
	v_add_u32_e32 v6, v37, v3
	ds_write2_b64 v24, v[17:18], v[19:20] offset0:4 offset1:5
	s_waitcnt lgkmcnt(0)
	s_barrier
	; wave barrier
	s_and_saveexec_b64 s[36:37], s[42:43]
; %bb.7:                                ;   in Loop: Header=BB46_6 Depth=2
	v_bcnt_u32_b32 v1, v1, 0
	v_bcnt_u32_b32 v1, v2, v1
	ds_write_b32 v6, v1 offset:32
; %bb.8:                                ;   in Loop: Header=BB46_6 Depth=2
	s_or_b64 exec, exec, s[36:37]
	v_lshrrev_b32_e32 v1, v12, v41
	v_lshlrev_b32_sdwa v2, v38, v1 dst_sel:DWORD dst_unused:UNUSED_PAD src0_sel:DWORD src1_sel:BYTE_0
	v_add_u32_e32 v8, v37, v2
	v_and_b32_e32 v2, 1, v1
	v_add_co_u32_e32 v3, vcc, -1, v2
	v_addc_co_u32_e64 v4, s[36:37], 0, -1, vcc
	v_cmp_ne_u32_e32 vcc, 0, v2
	v_lshlrev_b32_e32 v16, 30, v1
	v_xor_b32_e32 v2, vcc_hi, v4
	v_xor_b32_e32 v3, vcc_lo, v3
	v_cmp_gt_i64_e32 vcc, 0, v[15:16]
	v_not_b32_e32 v4, v16
	v_ashrrev_i32_e32 v4, 31, v4
	v_and_b32_e32 v2, exec_hi, v2
	v_xor_b32_e32 v16, vcc_hi, v4
	v_and_b32_e32 v3, exec_lo, v3
	v_xor_b32_e32 v4, vcc_lo, v4
	v_and_b32_e32 v2, v2, v16
	v_lshlrev_b32_e32 v16, 29, v1
	v_and_b32_e32 v3, v3, v4
	v_cmp_gt_i64_e32 vcc, 0, v[15:16]
	v_not_b32_e32 v4, v16
	v_ashrrev_i32_e32 v4, 31, v4
	v_xor_b32_e32 v16, vcc_hi, v4
	v_xor_b32_e32 v4, vcc_lo, v4
	v_and_b32_e32 v2, v2, v16
	v_lshlrev_b32_e32 v16, 28, v1
	v_and_b32_e32 v3, v3, v4
	v_cmp_gt_i64_e32 vcc, 0, v[15:16]
	v_not_b32_e32 v4, v16
	v_ashrrev_i32_e32 v4, 31, v4
	v_xor_b32_e32 v16, vcc_hi, v4
	;; [unrolled: 8-line block ×5, first 2 shown]
	v_and_b32_e32 v2, v2, v16
	v_lshlrev_b32_e32 v16, 24, v1
	v_xor_b32_e32 v4, vcc_lo, v4
	v_cmp_gt_i64_e32 vcc, 0, v[15:16]
	v_not_b32_e32 v1, v16
	v_ashrrev_i32_e32 v1, 31, v1
	v_and_b32_e32 v3, v3, v4
	v_xor_b32_e32 v4, vcc_hi, v1
	v_xor_b32_e32 v1, vcc_lo, v1
	; wave barrier
	ds_read_b32 v7, v8 offset:32
	v_and_b32_e32 v1, v3, v1
	v_and_b32_e32 v2, v2, v4
	v_mbcnt_lo_u32_b32 v3, v1, 0
	v_mbcnt_hi_u32_b32 v43, v2, v3
	v_cmp_ne_u64_e32 vcc, 0, v[1:2]
	v_cmp_eq_u32_e64 s[36:37], 0, v43
	s_and_b64 s[42:43], vcc, s[36:37]
	; wave barrier
	s_and_saveexec_b64 s[36:37], s[42:43]
	s_cbranch_execz .LBB46_10
; %bb.9:                                ;   in Loop: Header=BB46_6 Depth=2
	v_bcnt_u32_b32 v1, v1, 0
	v_bcnt_u32_b32 v1, v2, v1
	s_waitcnt lgkmcnt(0)
	v_add_u32_e32 v1, v7, v1
	ds_write_b32 v8, v1 offset:32
.LBB46_10:                              ;   in Loop: Header=BB46_6 Depth=2
	s_or_b64 exec, exec, s[36:37]
	v_lshrrev_b32_e32 v1, v12, v40
	v_lshlrev_b32_sdwa v2, v38, v1 dst_sel:DWORD dst_unused:UNUSED_PAD src0_sel:DWORD src1_sel:BYTE_0
	v_add_u32_e32 v45, v37, v2
	v_and_b32_e32 v2, 1, v1
	v_add_co_u32_e32 v3, vcc, -1, v2
	v_addc_co_u32_e64 v4, s[36:37], 0, -1, vcc
	v_cmp_ne_u32_e32 vcc, 0, v2
	v_lshlrev_b32_e32 v16, 30, v1
	v_xor_b32_e32 v2, vcc_hi, v4
	v_xor_b32_e32 v3, vcc_lo, v3
	v_cmp_gt_i64_e32 vcc, 0, v[15:16]
	v_not_b32_e32 v4, v16
	v_ashrrev_i32_e32 v4, 31, v4
	v_and_b32_e32 v2, exec_hi, v2
	v_xor_b32_e32 v16, vcc_hi, v4
	v_and_b32_e32 v3, exec_lo, v3
	v_xor_b32_e32 v4, vcc_lo, v4
	v_and_b32_e32 v2, v2, v16
	v_lshlrev_b32_e32 v16, 29, v1
	v_and_b32_e32 v3, v3, v4
	v_cmp_gt_i64_e32 vcc, 0, v[15:16]
	v_not_b32_e32 v4, v16
	v_ashrrev_i32_e32 v4, 31, v4
	v_xor_b32_e32 v16, vcc_hi, v4
	v_xor_b32_e32 v4, vcc_lo, v4
	v_and_b32_e32 v2, v2, v16
	v_lshlrev_b32_e32 v16, 28, v1
	v_and_b32_e32 v3, v3, v4
	v_cmp_gt_i64_e32 vcc, 0, v[15:16]
	v_not_b32_e32 v4, v16
	v_ashrrev_i32_e32 v4, 31, v4
	v_xor_b32_e32 v16, vcc_hi, v4
	;; [unrolled: 8-line block ×5, first 2 shown]
	v_and_b32_e32 v2, v2, v16
	v_lshlrev_b32_e32 v16, 24, v1
	v_xor_b32_e32 v4, vcc_lo, v4
	v_cmp_gt_i64_e32 vcc, 0, v[15:16]
	v_not_b32_e32 v1, v16
	v_ashrrev_i32_e32 v1, 31, v1
	v_and_b32_e32 v3, v3, v4
	v_xor_b32_e32 v4, vcc_hi, v1
	v_xor_b32_e32 v1, vcc_lo, v1
	; wave barrier
	ds_read_b32 v44, v45 offset:32
	v_and_b32_e32 v1, v3, v1
	v_and_b32_e32 v2, v2, v4
	v_mbcnt_lo_u32_b32 v3, v1, 0
	v_mbcnt_hi_u32_b32 v46, v2, v3
	v_cmp_ne_u64_e32 vcc, 0, v[1:2]
	v_cmp_eq_u32_e64 s[36:37], 0, v46
	s_and_b64 s[42:43], vcc, s[36:37]
	; wave barrier
	s_and_saveexec_b64 s[36:37], s[42:43]
	s_cbranch_execz .LBB46_12
; %bb.11:                               ;   in Loop: Header=BB46_6 Depth=2
	v_bcnt_u32_b32 v1, v1, 0
	v_bcnt_u32_b32 v1, v2, v1
	s_waitcnt lgkmcnt(0)
	v_add_u32_e32 v1, v44, v1
	ds_write_b32 v45, v1 offset:32
.LBB46_12:                              ;   in Loop: Header=BB46_6 Depth=2
	s_or_b64 exec, exec, s[36:37]
	v_lshrrev_b32_e32 v1, v12, v14
	v_lshlrev_b32_sdwa v2, v38, v1 dst_sel:DWORD dst_unused:UNUSED_PAD src0_sel:DWORD src1_sel:BYTE_0
	v_add_u32_e32 v48, v37, v2
	v_and_b32_e32 v2, 1, v1
	v_add_co_u32_e32 v3, vcc, -1, v2
	v_addc_co_u32_e64 v4, s[36:37], 0, -1, vcc
	v_cmp_ne_u32_e32 vcc, 0, v2
	v_lshlrev_b32_e32 v16, 30, v1
	v_xor_b32_e32 v2, vcc_hi, v4
	v_xor_b32_e32 v3, vcc_lo, v3
	v_cmp_gt_i64_e32 vcc, 0, v[15:16]
	v_not_b32_e32 v4, v16
	v_ashrrev_i32_e32 v4, 31, v4
	v_and_b32_e32 v2, exec_hi, v2
	v_xor_b32_e32 v16, vcc_hi, v4
	v_and_b32_e32 v3, exec_lo, v3
	v_xor_b32_e32 v4, vcc_lo, v4
	v_and_b32_e32 v2, v2, v16
	v_lshlrev_b32_e32 v16, 29, v1
	v_and_b32_e32 v3, v3, v4
	v_cmp_gt_i64_e32 vcc, 0, v[15:16]
	v_not_b32_e32 v4, v16
	v_ashrrev_i32_e32 v4, 31, v4
	v_xor_b32_e32 v16, vcc_hi, v4
	v_xor_b32_e32 v4, vcc_lo, v4
	v_and_b32_e32 v2, v2, v16
	v_lshlrev_b32_e32 v16, 28, v1
	v_and_b32_e32 v3, v3, v4
	v_cmp_gt_i64_e32 vcc, 0, v[15:16]
	v_not_b32_e32 v4, v16
	v_ashrrev_i32_e32 v4, 31, v4
	v_xor_b32_e32 v16, vcc_hi, v4
	;; [unrolled: 8-line block ×5, first 2 shown]
	v_and_b32_e32 v2, v2, v16
	v_lshlrev_b32_e32 v16, 24, v1
	v_xor_b32_e32 v4, vcc_lo, v4
	v_cmp_gt_i64_e32 vcc, 0, v[15:16]
	v_not_b32_e32 v1, v16
	v_ashrrev_i32_e32 v1, 31, v1
	v_and_b32_e32 v3, v3, v4
	v_xor_b32_e32 v4, vcc_hi, v1
	v_xor_b32_e32 v1, vcc_lo, v1
	; wave barrier
	ds_read_b32 v47, v48 offset:32
	v_and_b32_e32 v1, v3, v1
	v_and_b32_e32 v2, v2, v4
	v_mbcnt_lo_u32_b32 v3, v1, 0
	v_mbcnt_hi_u32_b32 v49, v2, v3
	v_cmp_ne_u64_e32 vcc, 0, v[1:2]
	v_cmp_eq_u32_e64 s[36:37], 0, v49
	s_and_b64 s[42:43], vcc, s[36:37]
	; wave barrier
	s_and_saveexec_b64 s[36:37], s[42:43]
	s_cbranch_execz .LBB46_14
; %bb.13:                               ;   in Loop: Header=BB46_6 Depth=2
	v_bcnt_u32_b32 v1, v1, 0
	v_bcnt_u32_b32 v1, v2, v1
	s_waitcnt lgkmcnt(0)
	v_add_u32_e32 v1, v47, v1
	ds_write_b32 v48, v1 offset:32
.LBB46_14:                              ;   in Loop: Header=BB46_6 Depth=2
	s_or_b64 exec, exec, s[36:37]
	v_lshrrev_b32_e32 v1, v12, v13
	v_lshlrev_b32_sdwa v2, v38, v1 dst_sel:DWORD dst_unused:UNUSED_PAD src0_sel:DWORD src1_sel:BYTE_0
	v_add_u32_e32 v51, v37, v2
	v_and_b32_e32 v2, 1, v1
	v_add_co_u32_e32 v3, vcc, -1, v2
	v_addc_co_u32_e64 v4, s[36:37], 0, -1, vcc
	v_cmp_ne_u32_e32 vcc, 0, v2
	v_lshlrev_b32_e32 v16, 30, v1
	v_xor_b32_e32 v2, vcc_hi, v4
	v_xor_b32_e32 v3, vcc_lo, v3
	v_cmp_gt_i64_e32 vcc, 0, v[15:16]
	v_not_b32_e32 v4, v16
	v_ashrrev_i32_e32 v4, 31, v4
	v_and_b32_e32 v2, exec_hi, v2
	v_xor_b32_e32 v16, vcc_hi, v4
	v_and_b32_e32 v3, exec_lo, v3
	v_xor_b32_e32 v4, vcc_lo, v4
	v_and_b32_e32 v2, v2, v16
	v_lshlrev_b32_e32 v16, 29, v1
	v_and_b32_e32 v3, v3, v4
	v_cmp_gt_i64_e32 vcc, 0, v[15:16]
	v_not_b32_e32 v4, v16
	v_ashrrev_i32_e32 v4, 31, v4
	v_xor_b32_e32 v16, vcc_hi, v4
	v_xor_b32_e32 v4, vcc_lo, v4
	v_and_b32_e32 v2, v2, v16
	v_lshlrev_b32_e32 v16, 28, v1
	v_and_b32_e32 v3, v3, v4
	v_cmp_gt_i64_e32 vcc, 0, v[15:16]
	v_not_b32_e32 v4, v16
	v_ashrrev_i32_e32 v4, 31, v4
	v_xor_b32_e32 v16, vcc_hi, v4
	;; [unrolled: 8-line block ×5, first 2 shown]
	v_and_b32_e32 v2, v2, v16
	v_lshlrev_b32_e32 v16, 24, v1
	v_xor_b32_e32 v4, vcc_lo, v4
	v_cmp_gt_i64_e32 vcc, 0, v[15:16]
	v_not_b32_e32 v1, v16
	v_ashrrev_i32_e32 v1, 31, v1
	v_and_b32_e32 v3, v3, v4
	v_xor_b32_e32 v4, vcc_hi, v1
	v_xor_b32_e32 v1, vcc_lo, v1
	; wave barrier
	ds_read_b32 v50, v51 offset:32
	v_and_b32_e32 v1, v3, v1
	v_and_b32_e32 v2, v2, v4
	v_mbcnt_lo_u32_b32 v3, v1, 0
	v_mbcnt_hi_u32_b32 v52, v2, v3
	v_cmp_ne_u64_e32 vcc, 0, v[1:2]
	v_cmp_eq_u32_e64 s[36:37], 0, v52
	s_and_b64 s[42:43], vcc, s[36:37]
	; wave barrier
	s_and_saveexec_b64 s[36:37], s[42:43]
	s_cbranch_execz .LBB46_16
; %bb.15:                               ;   in Loop: Header=BB46_6 Depth=2
	v_bcnt_u32_b32 v1, v1, 0
	v_bcnt_u32_b32 v1, v2, v1
	s_waitcnt lgkmcnt(0)
	v_add_u32_e32 v1, v50, v1
	ds_write_b32 v51, v1 offset:32
.LBB46_16:                              ;   in Loop: Header=BB46_6 Depth=2
	s_or_b64 exec, exec, s[36:37]
	v_lshrrev_b32_e32 v1, v12, v11
	v_lshlrev_b32_sdwa v2, v38, v1 dst_sel:DWORD dst_unused:UNUSED_PAD src0_sel:DWORD src1_sel:BYTE_0
	v_add_u32_e32 v54, v37, v2
	v_and_b32_e32 v2, 1, v1
	v_add_co_u32_e32 v3, vcc, -1, v2
	v_addc_co_u32_e64 v4, s[36:37], 0, -1, vcc
	v_cmp_ne_u32_e32 vcc, 0, v2
	v_lshlrev_b32_e32 v16, 30, v1
	v_xor_b32_e32 v2, vcc_hi, v4
	v_xor_b32_e32 v3, vcc_lo, v3
	v_cmp_gt_i64_e32 vcc, 0, v[15:16]
	v_not_b32_e32 v4, v16
	v_ashrrev_i32_e32 v4, 31, v4
	v_and_b32_e32 v2, exec_hi, v2
	v_xor_b32_e32 v16, vcc_hi, v4
	v_and_b32_e32 v3, exec_lo, v3
	v_xor_b32_e32 v4, vcc_lo, v4
	v_and_b32_e32 v2, v2, v16
	v_lshlrev_b32_e32 v16, 29, v1
	v_and_b32_e32 v3, v3, v4
	v_cmp_gt_i64_e32 vcc, 0, v[15:16]
	v_not_b32_e32 v4, v16
	v_ashrrev_i32_e32 v4, 31, v4
	v_xor_b32_e32 v16, vcc_hi, v4
	v_xor_b32_e32 v4, vcc_lo, v4
	v_and_b32_e32 v2, v2, v16
	v_lshlrev_b32_e32 v16, 28, v1
	v_and_b32_e32 v3, v3, v4
	v_cmp_gt_i64_e32 vcc, 0, v[15:16]
	v_not_b32_e32 v4, v16
	v_ashrrev_i32_e32 v4, 31, v4
	v_xor_b32_e32 v16, vcc_hi, v4
	;; [unrolled: 8-line block ×5, first 2 shown]
	v_and_b32_e32 v2, v2, v16
	v_lshlrev_b32_e32 v16, 24, v1
	v_xor_b32_e32 v4, vcc_lo, v4
	v_cmp_gt_i64_e32 vcc, 0, v[15:16]
	v_not_b32_e32 v1, v16
	v_ashrrev_i32_e32 v1, 31, v1
	v_and_b32_e32 v3, v3, v4
	v_xor_b32_e32 v4, vcc_hi, v1
	v_xor_b32_e32 v1, vcc_lo, v1
	; wave barrier
	ds_read_b32 v53, v54 offset:32
	v_and_b32_e32 v1, v3, v1
	v_and_b32_e32 v2, v2, v4
	v_mbcnt_lo_u32_b32 v3, v1, 0
	v_mbcnt_hi_u32_b32 v55, v2, v3
	v_cmp_ne_u64_e32 vcc, 0, v[1:2]
	v_cmp_eq_u32_e64 s[36:37], 0, v55
	s_and_b64 s[42:43], vcc, s[36:37]
	; wave barrier
	s_and_saveexec_b64 s[36:37], s[42:43]
	s_cbranch_execz .LBB46_18
; %bb.17:                               ;   in Loop: Header=BB46_6 Depth=2
	v_bcnt_u32_b32 v1, v1, 0
	v_bcnt_u32_b32 v1, v2, v1
	s_waitcnt lgkmcnt(0)
	v_add_u32_e32 v1, v53, v1
	ds_write_b32 v54, v1 offset:32
.LBB46_18:                              ;   in Loop: Header=BB46_6 Depth=2
	s_or_b64 exec, exec, s[36:37]
	v_lshrrev_b32_e32 v1, v12, v10
	v_lshlrev_b32_sdwa v2, v38, v1 dst_sel:DWORD dst_unused:UNUSED_PAD src0_sel:DWORD src1_sel:BYTE_0
	v_add_u32_e32 v57, v37, v2
	v_and_b32_e32 v2, 1, v1
	v_add_co_u32_e32 v3, vcc, -1, v2
	v_addc_co_u32_e64 v4, s[36:37], 0, -1, vcc
	v_cmp_ne_u32_e32 vcc, 0, v2
	v_lshlrev_b32_e32 v16, 30, v1
	v_xor_b32_e32 v2, vcc_hi, v4
	v_xor_b32_e32 v3, vcc_lo, v3
	v_cmp_gt_i64_e32 vcc, 0, v[15:16]
	v_not_b32_e32 v4, v16
	v_ashrrev_i32_e32 v4, 31, v4
	v_and_b32_e32 v2, exec_hi, v2
	v_xor_b32_e32 v16, vcc_hi, v4
	v_and_b32_e32 v3, exec_lo, v3
	v_xor_b32_e32 v4, vcc_lo, v4
	v_and_b32_e32 v2, v2, v16
	v_lshlrev_b32_e32 v16, 29, v1
	v_and_b32_e32 v3, v3, v4
	v_cmp_gt_i64_e32 vcc, 0, v[15:16]
	v_not_b32_e32 v4, v16
	v_ashrrev_i32_e32 v4, 31, v4
	v_xor_b32_e32 v16, vcc_hi, v4
	v_xor_b32_e32 v4, vcc_lo, v4
	v_and_b32_e32 v2, v2, v16
	v_lshlrev_b32_e32 v16, 28, v1
	v_and_b32_e32 v3, v3, v4
	v_cmp_gt_i64_e32 vcc, 0, v[15:16]
	v_not_b32_e32 v4, v16
	v_ashrrev_i32_e32 v4, 31, v4
	v_xor_b32_e32 v16, vcc_hi, v4
	;; [unrolled: 8-line block ×5, first 2 shown]
	v_and_b32_e32 v2, v2, v16
	v_lshlrev_b32_e32 v16, 24, v1
	v_xor_b32_e32 v4, vcc_lo, v4
	v_cmp_gt_i64_e32 vcc, 0, v[15:16]
	v_not_b32_e32 v1, v16
	v_ashrrev_i32_e32 v1, 31, v1
	v_and_b32_e32 v3, v3, v4
	v_xor_b32_e32 v4, vcc_hi, v1
	v_xor_b32_e32 v1, vcc_lo, v1
	; wave barrier
	ds_read_b32 v56, v57 offset:32
	v_and_b32_e32 v1, v3, v1
	v_and_b32_e32 v2, v2, v4
	v_mbcnt_lo_u32_b32 v3, v1, 0
	v_mbcnt_hi_u32_b32 v58, v2, v3
	v_cmp_ne_u64_e32 vcc, 0, v[1:2]
	v_cmp_eq_u32_e64 s[36:37], 0, v58
	s_and_b64 s[42:43], vcc, s[36:37]
	; wave barrier
	s_and_saveexec_b64 s[36:37], s[42:43]
	s_cbranch_execz .LBB46_20
; %bb.19:                               ;   in Loop: Header=BB46_6 Depth=2
	v_bcnt_u32_b32 v1, v1, 0
	v_bcnt_u32_b32 v1, v2, v1
	s_waitcnt lgkmcnt(0)
	v_add_u32_e32 v1, v56, v1
	ds_write_b32 v57, v1 offset:32
.LBB46_20:                              ;   in Loop: Header=BB46_6 Depth=2
	s_or_b64 exec, exec, s[36:37]
	v_lshrrev_b32_e32 v1, v12, v9
	v_lshlrev_b32_sdwa v2, v38, v1 dst_sel:DWORD dst_unused:UNUSED_PAD src0_sel:DWORD src1_sel:BYTE_0
	v_add_u32_e32 v60, v37, v2
	v_and_b32_e32 v2, 1, v1
	v_add_co_u32_e32 v3, vcc, -1, v2
	v_addc_co_u32_e64 v4, s[36:37], 0, -1, vcc
	v_cmp_ne_u32_e32 vcc, 0, v2
	v_lshlrev_b32_e32 v16, 30, v1
	v_xor_b32_e32 v2, vcc_hi, v4
	v_xor_b32_e32 v3, vcc_lo, v3
	v_cmp_gt_i64_e32 vcc, 0, v[15:16]
	v_not_b32_e32 v4, v16
	v_ashrrev_i32_e32 v4, 31, v4
	v_and_b32_e32 v2, exec_hi, v2
	v_xor_b32_e32 v16, vcc_hi, v4
	v_and_b32_e32 v3, exec_lo, v3
	v_xor_b32_e32 v4, vcc_lo, v4
	v_and_b32_e32 v2, v2, v16
	v_lshlrev_b32_e32 v16, 29, v1
	v_and_b32_e32 v3, v3, v4
	v_cmp_gt_i64_e32 vcc, 0, v[15:16]
	v_not_b32_e32 v4, v16
	v_ashrrev_i32_e32 v4, 31, v4
	v_xor_b32_e32 v16, vcc_hi, v4
	v_xor_b32_e32 v4, vcc_lo, v4
	v_and_b32_e32 v2, v2, v16
	v_lshlrev_b32_e32 v16, 28, v1
	v_and_b32_e32 v3, v3, v4
	v_cmp_gt_i64_e32 vcc, 0, v[15:16]
	v_not_b32_e32 v4, v16
	v_ashrrev_i32_e32 v4, 31, v4
	v_xor_b32_e32 v16, vcc_hi, v4
	;; [unrolled: 8-line block ×5, first 2 shown]
	v_and_b32_e32 v2, v2, v16
	v_lshlrev_b32_e32 v16, 24, v1
	v_xor_b32_e32 v4, vcc_lo, v4
	v_cmp_gt_i64_e32 vcc, 0, v[15:16]
	v_not_b32_e32 v1, v16
	v_ashrrev_i32_e32 v1, 31, v1
	v_and_b32_e32 v3, v3, v4
	v_xor_b32_e32 v4, vcc_hi, v1
	v_xor_b32_e32 v1, vcc_lo, v1
	; wave barrier
	ds_read_b32 v59, v60 offset:32
	v_and_b32_e32 v1, v3, v1
	v_and_b32_e32 v2, v2, v4
	v_mbcnt_lo_u32_b32 v3, v1, 0
	v_mbcnt_hi_u32_b32 v16, v2, v3
	v_cmp_ne_u64_e32 vcc, 0, v[1:2]
	v_cmp_eq_u32_e64 s[36:37], 0, v16
	s_and_b64 s[42:43], vcc, s[36:37]
	; wave barrier
	s_and_saveexec_b64 s[36:37], s[42:43]
	s_cbranch_execz .LBB46_22
; %bb.21:                               ;   in Loop: Header=BB46_6 Depth=2
	v_bcnt_u32_b32 v1, v1, 0
	v_bcnt_u32_b32 v1, v2, v1
	s_waitcnt lgkmcnt(0)
	v_add_u32_e32 v1, v59, v1
	ds_write_b32 v60, v1 offset:32
.LBB46_22:                              ;   in Loop: Header=BB46_6 Depth=2
	s_or_b64 exec, exec, s[36:37]
	; wave barrier
	s_waitcnt lgkmcnt(0)
	s_barrier
	ds_read2_b64 v[1:4], v24 offset0:4 offset1:5
	s_waitcnt lgkmcnt(0)
	v_add_u32_e32 v61, v2, v1
	v_add3_u32 v4, v61, v3, v4
	s_nop 1
	v_mov_b32_dpp v61, v4 row_shr:1 row_mask:0xf bank_mask:0xf
	v_cndmask_b32_e64 v61, v61, 0, s[2:3]
	v_add_u32_e32 v4, v61, v4
	s_nop 1
	v_mov_b32_dpp v61, v4 row_shr:2 row_mask:0xf bank_mask:0xf
	v_cndmask_b32_e64 v61, 0, v61, s[4:5]
	v_add_u32_e32 v4, v4, v61
	;; [unrolled: 4-line block ×4, first 2 shown]
	s_nop 1
	v_mov_b32_dpp v61, v4 row_bcast:15 row_mask:0xf bank_mask:0xf
	v_cndmask_b32_e64 v61, v61, 0, s[10:11]
	v_add_u32_e32 v4, v4, v61
	s_nop 1
	v_mov_b32_dpp v61, v4 row_bcast:31 row_mask:0xf bank_mask:0xf
	v_cndmask_b32_e64 v61, 0, v61, s[12:13]
	v_add_u32_e32 v4, v4, v61
	s_and_saveexec_b64 s[36:37], s[14:15]
; %bb.23:                               ;   in Loop: Header=BB46_6 Depth=2
	ds_write_b32 v26, v4
; %bb.24:                               ;   in Loop: Header=BB46_6 Depth=2
	s_or_b64 exec, exec, s[36:37]
	s_waitcnt lgkmcnt(0)
	s_barrier
	s_and_saveexec_b64 s[36:37], s[16:17]
	s_cbranch_execz .LBB46_26
; %bb.25:                               ;   in Loop: Header=BB46_6 Depth=2
	ds_read_b32 v61, v27
	s_waitcnt lgkmcnt(0)
	s_nop 0
	v_mov_b32_dpp v62, v61 row_shr:1 row_mask:0xf bank_mask:0xf
	v_cndmask_b32_e64 v62, v62, 0, s[26:27]
	v_add_u32_e32 v61, v62, v61
	s_nop 1
	v_mov_b32_dpp v62, v61 row_shr:2 row_mask:0xf bank_mask:0xf
	v_cndmask_b32_e64 v62, 0, v62, s[28:29]
	v_add_u32_e32 v61, v61, v62
	s_nop 1
	v_mov_b32_dpp v62, v61 row_shr:4 row_mask:0xf bank_mask:0xf
	v_cndmask_b32_e64 v62, 0, v62, s[30:31]
	v_add_u32_e32 v61, v61, v62
	ds_write_b32 v27, v61
.LBB46_26:                              ;   in Loop: Header=BB46_6 Depth=2
	s_or_b64 exec, exec, s[36:37]
	v_mov_b32_e32 v61, 0
	s_waitcnt lgkmcnt(0)
	s_barrier
	s_and_saveexec_b64 s[36:37], s[18:19]
; %bb.27:                               ;   in Loop: Header=BB46_6 Depth=2
	v_add_u32_e32 v61, -4, v26
	ds_read_b32 v61, v61
; %bb.28:                               ;   in Loop: Header=BB46_6 Depth=2
	s_or_b64 exec, exec, s[36:37]
	s_waitcnt lgkmcnt(0)
	v_add_u32_e32 v4, v61, v4
	ds_bpermute_b32 v4, v25, v4
	v_cmp_lt_u32_e32 vcc, 23, v12
	s_and_b64 vcc, exec, vcc
	s_mov_b64 s[36:37], -1
	s_waitcnt lgkmcnt(0)
	v_cndmask_b32_e64 v4, v4, v61, s[20:21]
	v_cndmask_b32_e64 v61, v4, 0, s[22:23]
	v_add_u32_e32 v62, v61, v1
	v_add_u32_e32 v1, v62, v2
	;; [unrolled: 1-line block ×3, first 2 shown]
	ds_write2_b64 v24, v[61:62], v[1:2] offset0:4 offset1:5
	s_waitcnt lgkmcnt(0)
	s_barrier
	ds_read_b32 v1, v6 offset:32
	ds_read_b32 v2, v8 offset:32
	;; [unrolled: 1-line block ×8, first 2 shown]
	s_waitcnt lgkmcnt(7)
	v_add_u32_e32 v54, v1, v5
	s_waitcnt lgkmcnt(6)
	v_add3_u32 v51, v43, v7, v2
	s_waitcnt lgkmcnt(5)
	v_add3_u32 v48, v46, v44, v3
	;; [unrolled: 2-line block ×7, first 2 shown]
                                        ; implicit-def: $vgpr8
                                        ; implicit-def: $vgpr6
                                        ; implicit-def: $vgpr4
                                        ; implicit-def: $vgpr2
	s_cbranch_vccnz .LBB46_5
; %bb.29:                               ;   in Loop: Header=BB46_6 Depth=2
	v_lshlrev_b32_e32 v1, 2, v54
	s_barrier
	ds_write_b32 v1, v42
	v_lshlrev_b32_e32 v1, 2, v51
	ds_write_b32 v1, v41
	v_lshlrev_b32_e32 v1, 2, v48
	;; [unrolled: 2-line block ×7, first 2 shown]
	ds_write_b32 v1, v9
	s_waitcnt lgkmcnt(0)
	s_barrier
	ds_read2st64_b32 v[1:2], v23 offset1:1
	ds_read2st64_b32 v[3:4], v23 offset0:2 offset1:3
	ds_read2st64_b32 v[5:6], v23 offset0:4 offset1:5
	;; [unrolled: 1-line block ×3, first 2 shown]
	v_add_u32_e32 v12, 8, v12
	s_mov_b64 s[36:37], 0
	s_waitcnt lgkmcnt(0)
	s_barrier
	s_branch .LBB46_5
.LBB46_30:                              ;   in Loop: Header=BB46_2 Depth=1
	v_lshlrev_b32_e32 v1, 2, v54
	s_barrier
	ds_write_b32 v1, v42
	v_lshlrev_b32_e32 v1, 2, v51
	ds_write_b32 v1, v41
	v_lshlrev_b32_e32 v1, 2, v48
	;; [unrolled: 2-line block ×7, first 2 shown]
	ds_write_b32 v1, v9
	s_waitcnt lgkmcnt(0)
	s_barrier
	ds_read2_b64 v[1:4], v28 offset0:2 offset1:3
	ds_read2_b64 v[11:14], v28 offset1:1
	v_mov_b32_e32 v7, 0x1000
	s_waitcnt lgkmcnt(0)
	s_barrier
	v_xor_b32_e32 v6, 0x80000000, v4
	v_xor_b32_e32 v5, 0x80000000, v3
	v_cmp_ne_u32_e32 vcc, v3, v4
	v_mov_b32_e32 v3, v6
	ds_write2st64_b32 v39, v7, v7 offset0:16 offset1:24
	s_waitcnt lgkmcnt(0)
	s_barrier
	ds_write_b32 v27, v6
	s_and_saveexec_b64 s[36:37], vcc
	s_cbranch_execz .LBB46_32
; %bb.31:                               ;   in Loop: Header=BB46_2 Depth=1
	v_lshlrev_b32_e32 v3, 2, v6
	v_lshlrev_b32_e32 v4, 2, v5
	ds_write_b32 v3, v30 offset:4096
	ds_write_b32 v4, v30 offset:6144
	v_mov_b32_e32 v3, v5
.LBB46_32:                              ;   in Loop: Header=BB46_2 Depth=1
	s_or_b64 exec, exec, s[36:37]
	v_xor_b32_e32 v4, 0x80000000, v2
	v_cmp_ne_u32_e32 vcc, v4, v3
	v_lshlrev_b32_e32 v7, 2, v4
	s_and_saveexec_b64 s[36:37], vcc
	s_cbranch_execz .LBB46_34
; %bb.33:                               ;   in Loop: Header=BB46_2 Depth=1
	v_lshlrev_b32_e32 v3, 2, v3
	ds_write_b32 v3, v31 offset:4096
	ds_write_b32 v7, v31 offset:6144
.LBB46_34:                              ;   in Loop: Header=BB46_2 Depth=1
	s_or_b64 exec, exec, s[36:37]
	v_xor_b32_e32 v3, 0x80000000, v1
	v_cmp_ne_u32_e32 vcc, v1, v2
	v_lshlrev_b32_e32 v8, 2, v3
	s_and_saveexec_b64 s[36:37], vcc
	s_cbranch_execz .LBB46_36
; %bb.35:                               ;   in Loop: Header=BB46_2 Depth=1
	ds_write_b32 v7, v32 offset:4096
	ds_write_b32 v8, v32 offset:6144
.LBB46_36:                              ;   in Loop: Header=BB46_2 Depth=1
	s_or_b64 exec, exec, s[36:37]
	v_xor_b32_e32 v10, 0x80000000, v14
	v_cmp_ne_u32_e32 vcc, v14, v1
	v_lshlrev_b32_e32 v2, 2, v10
	s_and_saveexec_b64 s[36:37], vcc
	s_cbranch_execz .LBB46_38
; %bb.37:                               ;   in Loop: Header=BB46_2 Depth=1
	ds_write_b32 v8, v33 offset:4096
	ds_write_b32 v2, v33 offset:6144
.LBB46_38:                              ;   in Loop: Header=BB46_2 Depth=1
	;; [unrolled: 10-line block ×5, first 2 shown]
	s_or_b64 exec, exec, s[36:37]
	s_waitcnt lgkmcnt(0)
	s_barrier
	s_and_saveexec_b64 s[36:37], s[24:25]
	s_cbranch_execz .LBB46_47
; %bb.45:                               ;   in Loop: Header=BB46_2 Depth=1
	v_add_u32_e32 v2, -4, v27
	ds_read_b32 v2, v2
	s_waitcnt lgkmcnt(0)
	v_cmp_ne_u32_e32 vcc, v2, v7
	s_and_b64 exec, exec, vcc
	s_cbranch_execz .LBB46_47
; %bb.46:                               ;   in Loop: Header=BB46_2 Depth=1
	v_lshlrev_b32_e32 v2, 2, v2
	ds_write_b32 v1, v21 offset:4096
	ds_write_b32 v2, v21 offset:6144
.LBB46_47:                              ;   in Loop: Header=BB46_2 Depth=1
	s_or_b64 exec, exec, s[36:37]
	s_waitcnt lgkmcnt(0)
	s_barrier
	s_and_saveexec_b64 s[36:37], s[22:23]
	s_cbranch_execz .LBB46_1
; %bb.48:                               ;   in Loop: Header=BB46_2 Depth=1
	ds_write_b32 v1, v15 offset:4096
	s_branch .LBB46_1
.LBB46_49:
	v_lshl_or_b32 v2, s6, 9, v0
	v_mov_b32_e32 v3, 0
	v_lshlrev_b64 v[2:3], 2, v[2:3]
	v_mov_b32_e32 v0, s39
	v_add_co_u32_e32 v2, vcc, s38, v2
	v_addc_co_u32_e32 v3, vcc, v0, v3, vcc
	global_store_dword v[2:3], v1, off
	s_endpgm
	.section	.rodata,"a",@progbits
	.p2align	6, 0x0
	.amdhsa_kernel _Z6kernelI9histogramILN6hipcub23BlockHistogramAlgorithmE1EEiLj512ELj8ELj512ELj100EEvPKT0_PS4_
		.amdhsa_group_segment_fixed_size 18432
		.amdhsa_private_segment_fixed_size 0
		.amdhsa_kernarg_size 272
		.amdhsa_user_sgpr_count 6
		.amdhsa_user_sgpr_private_segment_buffer 1
		.amdhsa_user_sgpr_dispatch_ptr 0
		.amdhsa_user_sgpr_queue_ptr 0
		.amdhsa_user_sgpr_kernarg_segment_ptr 1
		.amdhsa_user_sgpr_dispatch_id 0
		.amdhsa_user_sgpr_flat_scratch_init 0
		.amdhsa_user_sgpr_private_segment_size 0
		.amdhsa_uses_dynamic_stack 0
		.amdhsa_system_sgpr_private_segment_wavefront_offset 0
		.amdhsa_system_sgpr_workgroup_id_x 1
		.amdhsa_system_sgpr_workgroup_id_y 0
		.amdhsa_system_sgpr_workgroup_id_z 0
		.amdhsa_system_sgpr_workgroup_info 0
		.amdhsa_system_vgpr_workitem_id 2
		.amdhsa_next_free_vgpr 63
		.amdhsa_next_free_sgpr 93
		.amdhsa_reserve_vcc 1
		.amdhsa_reserve_flat_scratch 0
		.amdhsa_float_round_mode_32 0
		.amdhsa_float_round_mode_16_64 0
		.amdhsa_float_denorm_mode_32 3
		.amdhsa_float_denorm_mode_16_64 3
		.amdhsa_dx10_clamp 1
		.amdhsa_ieee_mode 1
		.amdhsa_fp16_overflow 0
		.amdhsa_exception_fp_ieee_invalid_op 0
		.amdhsa_exception_fp_denorm_src 0
		.amdhsa_exception_fp_ieee_div_zero 0
		.amdhsa_exception_fp_ieee_overflow 0
		.amdhsa_exception_fp_ieee_underflow 0
		.amdhsa_exception_fp_ieee_inexact 0
		.amdhsa_exception_int_div_zero 0
	.end_amdhsa_kernel
	.section	.text._Z6kernelI9histogramILN6hipcub23BlockHistogramAlgorithmE1EEiLj512ELj8ELj512ELj100EEvPKT0_PS4_,"axG",@progbits,_Z6kernelI9histogramILN6hipcub23BlockHistogramAlgorithmE1EEiLj512ELj8ELj512ELj100EEvPKT0_PS4_,comdat
.Lfunc_end46:
	.size	_Z6kernelI9histogramILN6hipcub23BlockHistogramAlgorithmE1EEiLj512ELj8ELj512ELj100EEvPKT0_PS4_, .Lfunc_end46-_Z6kernelI9histogramILN6hipcub23BlockHistogramAlgorithmE1EEiLj512ELj8ELj512ELj100EEvPKT0_PS4_
                                        ; -- End function
	.set _Z6kernelI9histogramILN6hipcub23BlockHistogramAlgorithmE1EEiLj512ELj8ELj512ELj100EEvPKT0_PS4_.num_vgpr, 63
	.set _Z6kernelI9histogramILN6hipcub23BlockHistogramAlgorithmE1EEiLj512ELj8ELj512ELj100EEvPKT0_PS4_.num_agpr, 0
	.set _Z6kernelI9histogramILN6hipcub23BlockHistogramAlgorithmE1EEiLj512ELj8ELj512ELj100EEvPKT0_PS4_.numbered_sgpr, 44
	.set _Z6kernelI9histogramILN6hipcub23BlockHistogramAlgorithmE1EEiLj512ELj8ELj512ELj100EEvPKT0_PS4_.num_named_barrier, 0
	.set _Z6kernelI9histogramILN6hipcub23BlockHistogramAlgorithmE1EEiLj512ELj8ELj512ELj100EEvPKT0_PS4_.private_seg_size, 0
	.set _Z6kernelI9histogramILN6hipcub23BlockHistogramAlgorithmE1EEiLj512ELj8ELj512ELj100EEvPKT0_PS4_.uses_vcc, 1
	.set _Z6kernelI9histogramILN6hipcub23BlockHistogramAlgorithmE1EEiLj512ELj8ELj512ELj100EEvPKT0_PS4_.uses_flat_scratch, 0
	.set _Z6kernelI9histogramILN6hipcub23BlockHistogramAlgorithmE1EEiLj512ELj8ELj512ELj100EEvPKT0_PS4_.has_dyn_sized_stack, 0
	.set _Z6kernelI9histogramILN6hipcub23BlockHistogramAlgorithmE1EEiLj512ELj8ELj512ELj100EEvPKT0_PS4_.has_recursion, 0
	.set _Z6kernelI9histogramILN6hipcub23BlockHistogramAlgorithmE1EEiLj512ELj8ELj512ELj100EEvPKT0_PS4_.has_indirect_call, 0
	.section	.AMDGPU.csdata,"",@progbits
; Kernel info:
; codeLenInByte = 4968
; TotalNumSgprs: 48
; NumVgprs: 63
; ScratchSize: 0
; MemoryBound: 0
; FloatMode: 240
; IeeeMode: 1
; LDSByteSize: 18432 bytes/workgroup (compile time only)
; SGPRBlocks: 12
; VGPRBlocks: 15
; NumSGPRsForWavesPerEU: 97
; NumVGPRsForWavesPerEU: 63
; Occupancy: 4
; WaveLimiterHint : 0
; COMPUTE_PGM_RSRC2:SCRATCH_EN: 0
; COMPUTE_PGM_RSRC2:USER_SGPR: 6
; COMPUTE_PGM_RSRC2:TRAP_HANDLER: 0
; COMPUTE_PGM_RSRC2:TGID_X_EN: 1
; COMPUTE_PGM_RSRC2:TGID_Y_EN: 0
; COMPUTE_PGM_RSRC2:TGID_Z_EN: 0
; COMPUTE_PGM_RSRC2:TIDIG_COMP_CNT: 2
	.section	.text._Z6kernelI9histogramILN6hipcub23BlockHistogramAlgorithmE1EEiLj512ELj16ELj512ELj100EEvPKT0_PS4_,"axG",@progbits,_Z6kernelI9histogramILN6hipcub23BlockHistogramAlgorithmE1EEiLj512ELj16ELj512ELj100EEvPKT0_PS4_,comdat
	.protected	_Z6kernelI9histogramILN6hipcub23BlockHistogramAlgorithmE1EEiLj512ELj16ELj512ELj100EEvPKT0_PS4_ ; -- Begin function _Z6kernelI9histogramILN6hipcub23BlockHistogramAlgorithmE1EEiLj512ELj16ELj512ELj100EEvPKT0_PS4_
	.globl	_Z6kernelI9histogramILN6hipcub23BlockHistogramAlgorithmE1EEiLj512ELj16ELj512ELj100EEvPKT0_PS4_
	.p2align	8
	.type	_Z6kernelI9histogramILN6hipcub23BlockHistogramAlgorithmE1EEiLj512ELj16ELj512ELj100EEvPKT0_PS4_,@function
_Z6kernelI9histogramILN6hipcub23BlockHistogramAlgorithmE1EEiLj512ELj16ELj512ELj100EEvPKT0_PS4_: ; @_Z6kernelI9histogramILN6hipcub23BlockHistogramAlgorithmE1EEiLj512ELj16ELj512ELj100EEvPKT0_PS4_
; %bb.0:
	s_load_dwordx4 s[36:39], s[4:5], 0x0
	s_load_dword s7, s[4:5], 0x1c
	v_lshlrev_b32_e32 v23, 4, v0
	v_mov_b32_e32 v17, 0
	v_lshl_or_b32 v3, s6, 13, v23
	v_mov_b32_e32 v4, v17
	v_lshlrev_b64 v[3:4], 2, v[3:4]
	s_waitcnt lgkmcnt(0)
	v_mov_b32_e32 v5, s37
	v_add_co_u32_e32 v7, vcc, s36, v3
	v_addc_co_u32_e32 v8, vcc, v5, v4, vcc
	global_load_dwordx4 v[3:6], v[7:8], off
	global_load_dwordx4 v[9:12], v[7:8], off offset:16
	global_load_dwordx4 v[18:21], v[7:8], off offset:32
	;; [unrolled: 1-line block ×3, first 2 shown]
	s_lshr_b32 s33, s7, 16
	v_mbcnt_lo_u32_b32 v7, -1, 0
	s_and_b32 s7, s7, 0xffff
	v_mad_u32_u24 v1, v2, s33, v1
	v_mbcnt_hi_u32_b32 v7, -1, v7
	v_mad_u64_u32 v[52:53], s[36:37], v1, s7, v[0:1]
	v_mov_b32_e32 v8, 0x8000
	v_lshlrev_b32_e32 v14, 6, v0
	v_subrev_co_u32_e64 v22, s[12:13], 1, v7
	v_and_b32_e32 v44, 64, v7
	s_mov_b32 s40, 0
	v_and_b32_e32 v13, 0x1c0, v0
	v_lshrrev_b32_e32 v15, 4, v0
	v_lshl_or_b32 v24, v0, 2, v8
	v_and_b32_e32 v8, 0x7000, v14
	v_cmp_lt_i32_e32 vcc, v22, v44
	v_add_lshl_u32 v25, v7, v13, 6
	v_and_b32_e32 v14, 15, v7
	v_and_b32_e32 v16, 16, v7
	v_cmp_lt_u32_e64 s[10:11], 31, v7
	v_and_b32_e32 v26, 28, v15
	v_mad_i32_i24 v27, v0, -12, v23
	v_and_b32_e32 v15, 7, v7
	v_lshl_or_b32 v43, v7, 2, v8
	v_cndmask_b32_e32 v7, v22, v7, vcc
	s_mov_b32 s36, s40
	s_movk_i32 s0, 0x200
	v_mul_i32_i24_e32 v54, 0xffffffc4, v0
	v_or_b32_e32 v13, 63, v13
	v_cmp_eq_u32_e64 s[22:23], 0, v16
	v_cmp_eq_u32_e64 s[26:27], 0, v15
	v_cmp_lt_u32_e64 s[28:29], 1, v15
	v_cmp_lt_u32_e64 s[30:31], 3, v15
	v_mad_u32_u24 v45, v0, 60, v27
	v_lshlrev_b32_e32 v47, 2, v7
	s_mov_b32 s41, s40
	s_mov_b32 s37, s40
	v_cmp_gt_u32_e64 s[0:1], s0, v0
	v_cmp_gt_u32_e64 s[2:3], 8, v0
	v_cmp_lt_u32_e64 s[4:5], 63, v0
	v_cmp_eq_u32_e64 s[34:35], 0, v0
	v_cmp_ne_u32_e64 s[8:9], 0, v0
	v_or_b32_e32 v28, 15, v23
	v_or_b32_e32 v29, 14, v23
	;; [unrolled: 1-line block ×15, first 2 shown]
	v_cmp_eq_u32_e64 s[14:15], 0, v14
	v_cmp_lt_u32_e64 s[16:17], 1, v14
	v_cmp_lt_u32_e64 s[18:19], 3, v14
	;; [unrolled: 1-line block ×3, first 2 shown]
	v_cmp_eq_u32_e64 s[24:25], v0, v13
	v_add_u32_e32 v44, -4, v26
	v_add_u32_e32 v46, -4, v27
	s_waitcnt vmcnt(3)
	v_xor_b32_e32 v15, 0x80000000, v5
	v_xor_b32_e32 v16, 0x80000000, v6
	s_waitcnt vmcnt(1)
	v_xor_b32_e32 v5, 0x80000000, v18
	v_xor_b32_e32 v6, 0x80000000, v19
	;; [unrolled: 1-line block ×4, first 2 shown]
	v_lshrrev_b32_e32 v18, 4, v52
	v_mov_b32_e32 v19, s40
	v_mov_b32_e32 v21, s36
	v_xor_b32_e32 v13, 0x80000000, v3
	v_xor_b32_e32 v14, 0x80000000, v4
	;; [unrolled: 1-line block ×6, first 2 shown]
	s_waitcnt vmcnt(0)
	v_xor_b32_e32 v1, 0x80000000, v48
	v_xor_b32_e32 v2, 0x80000000, v49
	;; [unrolled: 1-line block ×4, first 2 shown]
	v_and_b32_e32 v48, 0xffffffc, v18
	v_mov_b32_e32 v20, s41
	v_mov_b32_e32 v22, s37
	;; [unrolled: 1-line block ×4, first 2 shown]
	v_add_u32_e32 v51, v45, v54
	s_branch .LBB47_2
.LBB47_1:                               ;   in Loop: Header=BB47_2 Depth=1
	s_or_b64 exec, exec, s[36:37]
	s_waitcnt lgkmcnt(0)
	s_barrier
	ds_read2st64_b32 v[52:53], v51 offset0:16 offset1:24
	ds_read_b32 v18, v24
	s_add_i32 s40, s40, 1
	s_cmpk_lg_i32 s40, 0x64
	s_waitcnt lgkmcnt(1)
	v_sub_u32_e32 v52, v53, v52
	s_waitcnt lgkmcnt(0)
	v_add_u32_e32 v18, v52, v18
	ds_write_b32 v24, v18
	s_cbranch_scc0 .LBB47_81
.LBB47_2:                               ; =>This Loop Header: Depth=1
                                        ;     Child Loop BB47_6 Depth 2
	s_and_saveexec_b64 s[36:37], s[0:1]
; %bb.3:                                ;   in Loop: Header=BB47_2 Depth=1
	ds_write_b32 v24, v17
; %bb.4:                                ;   in Loop: Header=BB47_2 Depth=1
	s_or_b64 exec, exec, s[36:37]
	s_waitcnt lgkmcnt(0)
	s_barrier
	ds_write2_b64 v25, v[13:14], v[15:16] offset1:1
	ds_write2_b64 v25, v[9:10], v[11:12] offset0:2 offset1:3
	ds_write2_b64 v25, v[5:6], v[7:8] offset0:4 offset1:5
	;; [unrolled: 1-line block ×3, first 2 shown]
	; wave barrier
	ds_read2st64_b32 v[1:2], v43 offset1:1
	ds_read2st64_b32 v[3:4], v43 offset0:2 offset1:3
	ds_read2st64_b32 v[5:6], v43 offset0:4 offset1:5
	;; [unrolled: 1-line block ×7, first 2 shown]
	s_mov_b32 s7, 0
	s_waitcnt lgkmcnt(0)
	s_barrier
	; wave barrier
	s_barrier
	s_branch .LBB47_6
.LBB47_5:                               ;   in Loop: Header=BB47_6 Depth=2
	v_lshlrev_b32_e32 v1, 2, v83
	s_barrier
	ds_write_b32 v1, v67
	v_lshlrev_b32_e32 v1, 2, v95
	ds_write_b32 v1, v66
	v_lshlrev_b32_e32 v1, 2, v92
	;; [unrolled: 2-line block ×15, first 2 shown]
	ds_write_b32 v1, v52
	s_waitcnt lgkmcnt(0)
	s_barrier
	ds_read2st64_b32 v[1:2], v43 offset1:1
	ds_read2st64_b32 v[3:4], v43 offset0:2 offset1:3
	ds_read2st64_b32 v[5:6], v43 offset0:4 offset1:5
	;; [unrolled: 1-line block ×7, first 2 shown]
	s_add_i32 s7, s7, 8
	s_waitcnt lgkmcnt(0)
	s_barrier
	s_cbranch_execz .LBB47_46
.LBB47_6:                               ;   Parent Loop BB47_2 Depth=1
                                        ; =>  This Inner Loop Header: Depth=2
	v_mov_b32_e32 v67, v1
	v_lshrrev_b32_e32 v1, s7, v67
	v_mov_b32_e32 v66, v2
	v_and_b32_e32 v2, 1, v1
	v_mov_b32_e32 v64, v4
	v_add_co_u32_e32 v4, vcc, -1, v2
	v_mov_b32_e32 v63, v5
	v_addc_co_u32_e64 v5, s[36:37], 0, -1, vcc
	v_cmp_ne_u32_e32 vcc, 0, v2
	v_lshlrev_b32_e32 v18, 30, v1
	v_xor_b32_e32 v2, vcc_hi, v5
	v_xor_b32_e32 v4, vcc_lo, v4
	v_cmp_gt_i64_e32 vcc, 0, v[17:18]
	v_not_b32_e32 v5, v18
	v_ashrrev_i32_e32 v5, 31, v5
	v_mov_b32_e32 v62, v6
	v_and_b32_e32 v4, exec_lo, v4
	v_xor_b32_e32 v6, vcc_hi, v5
	v_xor_b32_e32 v5, vcc_lo, v5
	v_lshlrev_b32_e32 v18, 29, v1
	v_and_b32_e32 v4, v4, v5
	v_cmp_gt_i64_e32 vcc, 0, v[17:18]
	v_not_b32_e32 v5, v18
	v_and_b32_e32 v2, exec_hi, v2
	v_ashrrev_i32_e32 v5, 31, v5
	v_and_b32_e32 v2, v2, v6
	v_xor_b32_e32 v6, vcc_hi, v5
	v_xor_b32_e32 v5, vcc_lo, v5
	v_lshlrev_b32_e32 v18, 28, v1
	v_and_b32_e32 v4, v4, v5
	v_cmp_gt_i64_e32 vcc, 0, v[17:18]
	v_not_b32_e32 v5, v18
	v_ashrrev_i32_e32 v5, 31, v5
	v_and_b32_e32 v2, v2, v6
	v_xor_b32_e32 v6, vcc_hi, v5
	v_xor_b32_e32 v5, vcc_lo, v5
	v_lshlrev_b32_e32 v18, 27, v1
	v_and_b32_e32 v4, v4, v5
	v_cmp_gt_i64_e32 vcc, 0, v[17:18]
	v_not_b32_e32 v5, v18
	;; [unrolled: 8-line block ×4, first 2 shown]
	v_ashrrev_i32_e32 v5, 31, v5
	v_lshlrev_b32_e32 v18, 24, v1
	v_mov_b32_e32 v65, v3
	v_lshlrev_b32_sdwa v3, v50, v1 dst_sel:DWORD dst_unused:UNUSED_PAD src0_sel:DWORD src1_sel:BYTE_0
	v_and_b32_e32 v2, v2, v6
	v_xor_b32_e32 v6, vcc_hi, v5
	v_xor_b32_e32 v5, vcc_lo, v5
	v_cmp_gt_i64_e32 vcc, 0, v[17:18]
	v_not_b32_e32 v1, v18
	v_ashrrev_i32_e32 v1, 31, v1
	v_and_b32_e32 v4, v4, v5
	v_xor_b32_e32 v5, vcc_hi, v1
	v_xor_b32_e32 v1, vcc_lo, v1
	v_and_b32_e32 v2, v2, v6
	v_and_b32_e32 v1, v4, v1
	;; [unrolled: 1-line block ×3, first 2 shown]
	v_mbcnt_lo_u32_b32 v4, v1, 0
	v_mbcnt_hi_u32_b32 v5, v2, v4
	v_cmp_ne_u64_e32 vcc, 0, v[1:2]
	v_cmp_eq_u32_e64 s[36:37], 0, v5
	v_mov_b32_e32 v61, v7
	v_mov_b32_e32 v60, v8
	;; [unrolled: 1-line block ×10, first 2 shown]
	s_and_b64 s[42:43], vcc, s[36:37]
	v_add_u32_e32 v8, v48, v3
	ds_write2_b64 v23, v[19:20], v[21:22] offset0:4 offset1:5
	s_waitcnt lgkmcnt(0)
	s_barrier
	; wave barrier
	s_and_saveexec_b64 s[36:37], s[42:43]
; %bb.7:                                ;   in Loop: Header=BB47_6 Depth=2
	v_bcnt_u32_b32 v1, v1, 0
	v_bcnt_u32_b32 v1, v2, v1
	ds_write_b32 v8, v1 offset:32
; %bb.8:                                ;   in Loop: Header=BB47_6 Depth=2
	s_or_b64 exec, exec, s[36:37]
	v_lshrrev_b32_e32 v1, s7, v66
	v_lshlrev_b32_sdwa v2, v50, v1 dst_sel:DWORD dst_unused:UNUSED_PAD src0_sel:DWORD src1_sel:BYTE_0
	v_add_u32_e32 v7, v48, v2
	v_and_b32_e32 v2, 1, v1
	v_add_co_u32_e32 v3, vcc, -1, v2
	v_addc_co_u32_e64 v4, s[36:37], 0, -1, vcc
	v_cmp_ne_u32_e32 vcc, 0, v2
	v_lshlrev_b32_e32 v18, 30, v1
	v_xor_b32_e32 v2, vcc_hi, v4
	v_xor_b32_e32 v3, vcc_lo, v3
	v_cmp_gt_i64_e32 vcc, 0, v[17:18]
	v_not_b32_e32 v4, v18
	v_ashrrev_i32_e32 v4, 31, v4
	v_and_b32_e32 v3, exec_lo, v3
	v_xor_b32_e32 v9, vcc_hi, v4
	v_xor_b32_e32 v4, vcc_lo, v4
	v_lshlrev_b32_e32 v18, 29, v1
	v_and_b32_e32 v3, v3, v4
	v_cmp_gt_i64_e32 vcc, 0, v[17:18]
	v_not_b32_e32 v4, v18
	v_and_b32_e32 v2, exec_hi, v2
	v_ashrrev_i32_e32 v4, 31, v4
	v_and_b32_e32 v2, v2, v9
	v_xor_b32_e32 v9, vcc_hi, v4
	v_xor_b32_e32 v4, vcc_lo, v4
	v_lshlrev_b32_e32 v18, 28, v1
	v_and_b32_e32 v3, v3, v4
	v_cmp_gt_i64_e32 vcc, 0, v[17:18]
	v_not_b32_e32 v4, v18
	v_ashrrev_i32_e32 v4, 31, v4
	v_and_b32_e32 v2, v2, v9
	v_xor_b32_e32 v9, vcc_hi, v4
	v_xor_b32_e32 v4, vcc_lo, v4
	v_lshlrev_b32_e32 v18, 27, v1
	v_and_b32_e32 v3, v3, v4
	v_cmp_gt_i64_e32 vcc, 0, v[17:18]
	v_not_b32_e32 v4, v18
	;; [unrolled: 8-line block ×4, first 2 shown]
	v_ashrrev_i32_e32 v4, 31, v4
	v_lshlrev_b32_e32 v18, 24, v1
	v_and_b32_e32 v2, v2, v9
	v_xor_b32_e32 v9, vcc_hi, v4
	v_xor_b32_e32 v4, vcc_lo, v4
	v_cmp_gt_i64_e32 vcc, 0, v[17:18]
	v_not_b32_e32 v1, v18
	v_ashrrev_i32_e32 v1, 31, v1
	v_and_b32_e32 v3, v3, v4
	v_xor_b32_e32 v4, vcc_hi, v1
	v_xor_b32_e32 v1, vcc_lo, v1
	; wave barrier
	ds_read_b32 v6, v7 offset:32
	v_and_b32_e32 v2, v2, v9
	v_and_b32_e32 v1, v3, v1
	;; [unrolled: 1-line block ×3, first 2 shown]
	v_mbcnt_lo_u32_b32 v3, v1, 0
	v_mbcnt_hi_u32_b32 v9, v2, v3
	v_cmp_ne_u64_e32 vcc, 0, v[1:2]
	v_cmp_eq_u32_e64 s[36:37], 0, v9
	s_and_b64 s[42:43], vcc, s[36:37]
	; wave barrier
	s_and_saveexec_b64 s[36:37], s[42:43]
	s_cbranch_execz .LBB47_10
; %bb.9:                                ;   in Loop: Header=BB47_6 Depth=2
	v_bcnt_u32_b32 v1, v1, 0
	v_bcnt_u32_b32 v1, v2, v1
	s_waitcnt lgkmcnt(0)
	v_add_u32_e32 v1, v6, v1
	ds_write_b32 v7, v1 offset:32
.LBB47_10:                              ;   in Loop: Header=BB47_6 Depth=2
	s_or_b64 exec, exec, s[36:37]
	v_lshrrev_b32_e32 v1, s7, v65
	v_lshlrev_b32_sdwa v2, v50, v1 dst_sel:DWORD dst_unused:UNUSED_PAD src0_sel:DWORD src1_sel:BYTE_0
	v_add_u32_e32 v11, v48, v2
	v_and_b32_e32 v2, 1, v1
	v_add_co_u32_e32 v3, vcc, -1, v2
	v_addc_co_u32_e64 v4, s[36:37], 0, -1, vcc
	v_cmp_ne_u32_e32 vcc, 0, v2
	v_lshlrev_b32_e32 v18, 30, v1
	v_xor_b32_e32 v2, vcc_hi, v4
	v_xor_b32_e32 v3, vcc_lo, v3
	v_cmp_gt_i64_e32 vcc, 0, v[17:18]
	v_not_b32_e32 v4, v18
	v_ashrrev_i32_e32 v4, 31, v4
	v_and_b32_e32 v3, exec_lo, v3
	v_xor_b32_e32 v12, vcc_hi, v4
	v_xor_b32_e32 v4, vcc_lo, v4
	v_lshlrev_b32_e32 v18, 29, v1
	v_and_b32_e32 v3, v3, v4
	v_cmp_gt_i64_e32 vcc, 0, v[17:18]
	v_not_b32_e32 v4, v18
	v_and_b32_e32 v2, exec_hi, v2
	v_ashrrev_i32_e32 v4, 31, v4
	v_and_b32_e32 v2, v2, v12
	v_xor_b32_e32 v12, vcc_hi, v4
	v_xor_b32_e32 v4, vcc_lo, v4
	v_lshlrev_b32_e32 v18, 28, v1
	v_and_b32_e32 v3, v3, v4
	v_cmp_gt_i64_e32 vcc, 0, v[17:18]
	v_not_b32_e32 v4, v18
	v_ashrrev_i32_e32 v4, 31, v4
	v_and_b32_e32 v2, v2, v12
	v_xor_b32_e32 v12, vcc_hi, v4
	v_xor_b32_e32 v4, vcc_lo, v4
	v_lshlrev_b32_e32 v18, 27, v1
	v_and_b32_e32 v3, v3, v4
	v_cmp_gt_i64_e32 vcc, 0, v[17:18]
	v_not_b32_e32 v4, v18
	;; [unrolled: 8-line block ×4, first 2 shown]
	v_ashrrev_i32_e32 v4, 31, v4
	v_lshlrev_b32_e32 v18, 24, v1
	v_and_b32_e32 v2, v2, v12
	v_xor_b32_e32 v12, vcc_hi, v4
	v_xor_b32_e32 v4, vcc_lo, v4
	v_cmp_gt_i64_e32 vcc, 0, v[17:18]
	v_not_b32_e32 v1, v18
	v_ashrrev_i32_e32 v1, 31, v1
	v_and_b32_e32 v3, v3, v4
	v_xor_b32_e32 v4, vcc_hi, v1
	v_xor_b32_e32 v1, vcc_lo, v1
	; wave barrier
	ds_read_b32 v10, v11 offset:32
	v_and_b32_e32 v2, v2, v12
	v_and_b32_e32 v1, v3, v1
	;; [unrolled: 1-line block ×3, first 2 shown]
	v_mbcnt_lo_u32_b32 v3, v1, 0
	v_mbcnt_hi_u32_b32 v12, v2, v3
	v_cmp_ne_u64_e32 vcc, 0, v[1:2]
	v_cmp_eq_u32_e64 s[36:37], 0, v12
	s_and_b64 s[42:43], vcc, s[36:37]
	; wave barrier
	s_and_saveexec_b64 s[36:37], s[42:43]
	s_cbranch_execz .LBB47_12
; %bb.11:                               ;   in Loop: Header=BB47_6 Depth=2
	v_bcnt_u32_b32 v1, v1, 0
	v_bcnt_u32_b32 v1, v2, v1
	s_waitcnt lgkmcnt(0)
	v_add_u32_e32 v1, v10, v1
	ds_write_b32 v11, v1 offset:32
.LBB47_12:                              ;   in Loop: Header=BB47_6 Depth=2
	s_or_b64 exec, exec, s[36:37]
	v_lshrrev_b32_e32 v1, s7, v64
	v_lshlrev_b32_sdwa v2, v50, v1 dst_sel:DWORD dst_unused:UNUSED_PAD src0_sel:DWORD src1_sel:BYTE_0
	v_add_u32_e32 v14, v48, v2
	v_and_b32_e32 v2, 1, v1
	v_add_co_u32_e32 v3, vcc, -1, v2
	v_addc_co_u32_e64 v4, s[36:37], 0, -1, vcc
	v_cmp_ne_u32_e32 vcc, 0, v2
	v_lshlrev_b32_e32 v18, 30, v1
	v_xor_b32_e32 v2, vcc_hi, v4
	v_xor_b32_e32 v3, vcc_lo, v3
	v_cmp_gt_i64_e32 vcc, 0, v[17:18]
	v_not_b32_e32 v4, v18
	v_ashrrev_i32_e32 v4, 31, v4
	v_and_b32_e32 v3, exec_lo, v3
	v_xor_b32_e32 v15, vcc_hi, v4
	v_xor_b32_e32 v4, vcc_lo, v4
	v_lshlrev_b32_e32 v18, 29, v1
	v_and_b32_e32 v3, v3, v4
	v_cmp_gt_i64_e32 vcc, 0, v[17:18]
	v_not_b32_e32 v4, v18
	v_and_b32_e32 v2, exec_hi, v2
	v_ashrrev_i32_e32 v4, 31, v4
	v_and_b32_e32 v2, v2, v15
	v_xor_b32_e32 v15, vcc_hi, v4
	v_xor_b32_e32 v4, vcc_lo, v4
	v_lshlrev_b32_e32 v18, 28, v1
	v_and_b32_e32 v3, v3, v4
	v_cmp_gt_i64_e32 vcc, 0, v[17:18]
	v_not_b32_e32 v4, v18
	v_ashrrev_i32_e32 v4, 31, v4
	v_and_b32_e32 v2, v2, v15
	v_xor_b32_e32 v15, vcc_hi, v4
	v_xor_b32_e32 v4, vcc_lo, v4
	v_lshlrev_b32_e32 v18, 27, v1
	v_and_b32_e32 v3, v3, v4
	v_cmp_gt_i64_e32 vcc, 0, v[17:18]
	v_not_b32_e32 v4, v18
	;; [unrolled: 8-line block ×4, first 2 shown]
	v_ashrrev_i32_e32 v4, 31, v4
	v_lshlrev_b32_e32 v18, 24, v1
	v_and_b32_e32 v2, v2, v15
	v_xor_b32_e32 v15, vcc_hi, v4
	v_xor_b32_e32 v4, vcc_lo, v4
	v_cmp_gt_i64_e32 vcc, 0, v[17:18]
	v_not_b32_e32 v1, v18
	v_ashrrev_i32_e32 v1, 31, v1
	v_and_b32_e32 v3, v3, v4
	v_xor_b32_e32 v4, vcc_hi, v1
	v_xor_b32_e32 v1, vcc_lo, v1
	; wave barrier
	ds_read_b32 v13, v14 offset:32
	v_and_b32_e32 v2, v2, v15
	v_and_b32_e32 v1, v3, v1
	;; [unrolled: 1-line block ×3, first 2 shown]
	v_mbcnt_lo_u32_b32 v3, v1, 0
	v_mbcnt_hi_u32_b32 v15, v2, v3
	v_cmp_ne_u64_e32 vcc, 0, v[1:2]
	v_cmp_eq_u32_e64 s[36:37], 0, v15
	s_and_b64 s[42:43], vcc, s[36:37]
	; wave barrier
	s_and_saveexec_b64 s[36:37], s[42:43]
	s_cbranch_execz .LBB47_14
; %bb.13:                               ;   in Loop: Header=BB47_6 Depth=2
	v_bcnt_u32_b32 v1, v1, 0
	v_bcnt_u32_b32 v1, v2, v1
	s_waitcnt lgkmcnt(0)
	v_add_u32_e32 v1, v13, v1
	ds_write_b32 v14, v1 offset:32
.LBB47_14:                              ;   in Loop: Header=BB47_6 Depth=2
	s_or_b64 exec, exec, s[36:37]
	v_lshrrev_b32_e32 v1, s7, v63
	v_lshlrev_b32_sdwa v2, v50, v1 dst_sel:DWORD dst_unused:UNUSED_PAD src0_sel:DWORD src1_sel:BYTE_0
	v_add_u32_e32 v68, v48, v2
	v_and_b32_e32 v2, 1, v1
	v_add_co_u32_e32 v3, vcc, -1, v2
	v_addc_co_u32_e64 v4, s[36:37], 0, -1, vcc
	v_cmp_ne_u32_e32 vcc, 0, v2
	v_lshlrev_b32_e32 v18, 30, v1
	v_xor_b32_e32 v2, vcc_hi, v4
	v_xor_b32_e32 v3, vcc_lo, v3
	v_cmp_gt_i64_e32 vcc, 0, v[17:18]
	v_not_b32_e32 v4, v18
	v_ashrrev_i32_e32 v4, 31, v4
	v_and_b32_e32 v2, exec_hi, v2
	v_xor_b32_e32 v18, vcc_hi, v4
	v_and_b32_e32 v3, exec_lo, v3
	v_xor_b32_e32 v4, vcc_lo, v4
	v_and_b32_e32 v2, v2, v18
	v_lshlrev_b32_e32 v18, 29, v1
	v_and_b32_e32 v3, v3, v4
	v_cmp_gt_i64_e32 vcc, 0, v[17:18]
	v_not_b32_e32 v4, v18
	v_ashrrev_i32_e32 v4, 31, v4
	v_xor_b32_e32 v18, vcc_hi, v4
	v_xor_b32_e32 v4, vcc_lo, v4
	v_and_b32_e32 v2, v2, v18
	v_lshlrev_b32_e32 v18, 28, v1
	v_and_b32_e32 v3, v3, v4
	v_cmp_gt_i64_e32 vcc, 0, v[17:18]
	v_not_b32_e32 v4, v18
	v_ashrrev_i32_e32 v4, 31, v4
	v_xor_b32_e32 v18, vcc_hi, v4
	;; [unrolled: 8-line block ×5, first 2 shown]
	v_and_b32_e32 v2, v2, v18
	v_lshlrev_b32_e32 v18, 24, v1
	v_xor_b32_e32 v4, vcc_lo, v4
	v_cmp_gt_i64_e32 vcc, 0, v[17:18]
	v_not_b32_e32 v1, v18
	v_ashrrev_i32_e32 v1, 31, v1
	v_and_b32_e32 v3, v3, v4
	v_xor_b32_e32 v4, vcc_hi, v1
	v_xor_b32_e32 v1, vcc_lo, v1
	; wave barrier
	ds_read_b32 v16, v68 offset:32
	v_and_b32_e32 v1, v3, v1
	v_and_b32_e32 v2, v2, v4
	v_mbcnt_lo_u32_b32 v3, v1, 0
	v_mbcnt_hi_u32_b32 v69, v2, v3
	v_cmp_ne_u64_e32 vcc, 0, v[1:2]
	v_cmp_eq_u32_e64 s[36:37], 0, v69
	s_and_b64 s[42:43], vcc, s[36:37]
	; wave barrier
	s_and_saveexec_b64 s[36:37], s[42:43]
	s_cbranch_execz .LBB47_16
; %bb.15:                               ;   in Loop: Header=BB47_6 Depth=2
	v_bcnt_u32_b32 v1, v1, 0
	v_bcnt_u32_b32 v1, v2, v1
	s_waitcnt lgkmcnt(0)
	v_add_u32_e32 v1, v16, v1
	ds_write_b32 v68, v1 offset:32
.LBB47_16:                              ;   in Loop: Header=BB47_6 Depth=2
	s_or_b64 exec, exec, s[36:37]
	v_lshrrev_b32_e32 v1, s7, v62
	v_lshlrev_b32_sdwa v2, v50, v1 dst_sel:DWORD dst_unused:UNUSED_PAD src0_sel:DWORD src1_sel:BYTE_0
	v_add_u32_e32 v71, v48, v2
	v_and_b32_e32 v2, 1, v1
	v_add_co_u32_e32 v3, vcc, -1, v2
	v_addc_co_u32_e64 v4, s[36:37], 0, -1, vcc
	v_cmp_ne_u32_e32 vcc, 0, v2
	v_lshlrev_b32_e32 v18, 30, v1
	v_xor_b32_e32 v2, vcc_hi, v4
	v_xor_b32_e32 v3, vcc_lo, v3
	v_cmp_gt_i64_e32 vcc, 0, v[17:18]
	v_not_b32_e32 v4, v18
	v_ashrrev_i32_e32 v4, 31, v4
	v_and_b32_e32 v2, exec_hi, v2
	v_xor_b32_e32 v18, vcc_hi, v4
	v_and_b32_e32 v3, exec_lo, v3
	v_xor_b32_e32 v4, vcc_lo, v4
	v_and_b32_e32 v2, v2, v18
	v_lshlrev_b32_e32 v18, 29, v1
	v_and_b32_e32 v3, v3, v4
	v_cmp_gt_i64_e32 vcc, 0, v[17:18]
	v_not_b32_e32 v4, v18
	v_ashrrev_i32_e32 v4, 31, v4
	v_xor_b32_e32 v18, vcc_hi, v4
	v_xor_b32_e32 v4, vcc_lo, v4
	v_and_b32_e32 v2, v2, v18
	v_lshlrev_b32_e32 v18, 28, v1
	v_and_b32_e32 v3, v3, v4
	v_cmp_gt_i64_e32 vcc, 0, v[17:18]
	v_not_b32_e32 v4, v18
	v_ashrrev_i32_e32 v4, 31, v4
	v_xor_b32_e32 v18, vcc_hi, v4
	;; [unrolled: 8-line block ×5, first 2 shown]
	v_and_b32_e32 v2, v2, v18
	v_lshlrev_b32_e32 v18, 24, v1
	v_xor_b32_e32 v4, vcc_lo, v4
	v_cmp_gt_i64_e32 vcc, 0, v[17:18]
	v_not_b32_e32 v1, v18
	v_ashrrev_i32_e32 v1, 31, v1
	v_and_b32_e32 v3, v3, v4
	v_xor_b32_e32 v4, vcc_hi, v1
	v_xor_b32_e32 v1, vcc_lo, v1
	; wave barrier
	ds_read_b32 v70, v71 offset:32
	v_and_b32_e32 v1, v3, v1
	v_and_b32_e32 v2, v2, v4
	v_mbcnt_lo_u32_b32 v3, v1, 0
	v_mbcnt_hi_u32_b32 v72, v2, v3
	v_cmp_ne_u64_e32 vcc, 0, v[1:2]
	v_cmp_eq_u32_e64 s[36:37], 0, v72
	s_and_b64 s[42:43], vcc, s[36:37]
	; wave barrier
	s_and_saveexec_b64 s[36:37], s[42:43]
	s_cbranch_execz .LBB47_18
; %bb.17:                               ;   in Loop: Header=BB47_6 Depth=2
	v_bcnt_u32_b32 v1, v1, 0
	v_bcnt_u32_b32 v1, v2, v1
	s_waitcnt lgkmcnt(0)
	v_add_u32_e32 v1, v70, v1
	ds_write_b32 v71, v1 offset:32
.LBB47_18:                              ;   in Loop: Header=BB47_6 Depth=2
	s_or_b64 exec, exec, s[36:37]
	v_lshrrev_b32_e32 v1, s7, v61
	v_lshlrev_b32_sdwa v2, v50, v1 dst_sel:DWORD dst_unused:UNUSED_PAD src0_sel:DWORD src1_sel:BYTE_0
	v_add_u32_e32 v74, v48, v2
	v_and_b32_e32 v2, 1, v1
	v_add_co_u32_e32 v3, vcc, -1, v2
	v_addc_co_u32_e64 v4, s[36:37], 0, -1, vcc
	v_cmp_ne_u32_e32 vcc, 0, v2
	v_lshlrev_b32_e32 v18, 30, v1
	v_xor_b32_e32 v2, vcc_hi, v4
	v_xor_b32_e32 v3, vcc_lo, v3
	v_cmp_gt_i64_e32 vcc, 0, v[17:18]
	v_not_b32_e32 v4, v18
	v_ashrrev_i32_e32 v4, 31, v4
	v_and_b32_e32 v2, exec_hi, v2
	v_xor_b32_e32 v18, vcc_hi, v4
	v_and_b32_e32 v3, exec_lo, v3
	v_xor_b32_e32 v4, vcc_lo, v4
	v_and_b32_e32 v2, v2, v18
	v_lshlrev_b32_e32 v18, 29, v1
	v_and_b32_e32 v3, v3, v4
	v_cmp_gt_i64_e32 vcc, 0, v[17:18]
	v_not_b32_e32 v4, v18
	v_ashrrev_i32_e32 v4, 31, v4
	v_xor_b32_e32 v18, vcc_hi, v4
	v_xor_b32_e32 v4, vcc_lo, v4
	v_and_b32_e32 v2, v2, v18
	v_lshlrev_b32_e32 v18, 28, v1
	v_and_b32_e32 v3, v3, v4
	v_cmp_gt_i64_e32 vcc, 0, v[17:18]
	v_not_b32_e32 v4, v18
	v_ashrrev_i32_e32 v4, 31, v4
	v_xor_b32_e32 v18, vcc_hi, v4
	;; [unrolled: 8-line block ×5, first 2 shown]
	v_and_b32_e32 v2, v2, v18
	v_lshlrev_b32_e32 v18, 24, v1
	v_xor_b32_e32 v4, vcc_lo, v4
	v_cmp_gt_i64_e32 vcc, 0, v[17:18]
	v_not_b32_e32 v1, v18
	v_ashrrev_i32_e32 v1, 31, v1
	v_and_b32_e32 v3, v3, v4
	v_xor_b32_e32 v4, vcc_hi, v1
	v_xor_b32_e32 v1, vcc_lo, v1
	; wave barrier
	ds_read_b32 v73, v74 offset:32
	v_and_b32_e32 v1, v3, v1
	v_and_b32_e32 v2, v2, v4
	v_mbcnt_lo_u32_b32 v3, v1, 0
	v_mbcnt_hi_u32_b32 v75, v2, v3
	v_cmp_ne_u64_e32 vcc, 0, v[1:2]
	v_cmp_eq_u32_e64 s[36:37], 0, v75
	s_and_b64 s[42:43], vcc, s[36:37]
	; wave barrier
	s_and_saveexec_b64 s[36:37], s[42:43]
	s_cbranch_execz .LBB47_20
; %bb.19:                               ;   in Loop: Header=BB47_6 Depth=2
	v_bcnt_u32_b32 v1, v1, 0
	v_bcnt_u32_b32 v1, v2, v1
	s_waitcnt lgkmcnt(0)
	v_add_u32_e32 v1, v73, v1
	ds_write_b32 v74, v1 offset:32
.LBB47_20:                              ;   in Loop: Header=BB47_6 Depth=2
	s_or_b64 exec, exec, s[36:37]
	v_lshrrev_b32_e32 v1, s7, v60
	v_lshlrev_b32_sdwa v2, v50, v1 dst_sel:DWORD dst_unused:UNUSED_PAD src0_sel:DWORD src1_sel:BYTE_0
	v_add_u32_e32 v77, v48, v2
	v_and_b32_e32 v2, 1, v1
	v_add_co_u32_e32 v3, vcc, -1, v2
	v_addc_co_u32_e64 v4, s[36:37], 0, -1, vcc
	v_cmp_ne_u32_e32 vcc, 0, v2
	v_lshlrev_b32_e32 v18, 30, v1
	v_xor_b32_e32 v2, vcc_hi, v4
	v_xor_b32_e32 v3, vcc_lo, v3
	v_cmp_gt_i64_e32 vcc, 0, v[17:18]
	v_not_b32_e32 v4, v18
	v_ashrrev_i32_e32 v4, 31, v4
	v_and_b32_e32 v2, exec_hi, v2
	v_xor_b32_e32 v18, vcc_hi, v4
	v_and_b32_e32 v3, exec_lo, v3
	v_xor_b32_e32 v4, vcc_lo, v4
	v_and_b32_e32 v2, v2, v18
	v_lshlrev_b32_e32 v18, 29, v1
	v_and_b32_e32 v3, v3, v4
	v_cmp_gt_i64_e32 vcc, 0, v[17:18]
	v_not_b32_e32 v4, v18
	v_ashrrev_i32_e32 v4, 31, v4
	v_xor_b32_e32 v18, vcc_hi, v4
	v_xor_b32_e32 v4, vcc_lo, v4
	v_and_b32_e32 v2, v2, v18
	v_lshlrev_b32_e32 v18, 28, v1
	v_and_b32_e32 v3, v3, v4
	v_cmp_gt_i64_e32 vcc, 0, v[17:18]
	v_not_b32_e32 v4, v18
	v_ashrrev_i32_e32 v4, 31, v4
	v_xor_b32_e32 v18, vcc_hi, v4
	v_xor_b32_e32 v4, vcc_lo, v4
	v_and_b32_e32 v2, v2, v18
	v_lshlrev_b32_e32 v18, 27, v1
	v_and_b32_e32 v3, v3, v4
	v_cmp_gt_i64_e32 vcc, 0, v[17:18]
	v_not_b32_e32 v4, v18
	v_ashrrev_i32_e32 v4, 31, v4
	v_xor_b32_e32 v18, vcc_hi, v4
	v_xor_b32_e32 v4, vcc_lo, v4
	v_and_b32_e32 v2, v2, v18
	v_lshlrev_b32_e32 v18, 26, v1
	v_and_b32_e32 v3, v3, v4
	v_cmp_gt_i64_e32 vcc, 0, v[17:18]
	v_not_b32_e32 v4, v18
	v_ashrrev_i32_e32 v4, 31, v4
	v_xor_b32_e32 v18, vcc_hi, v4
	v_xor_b32_e32 v4, vcc_lo, v4
	v_and_b32_e32 v2, v2, v18
	v_lshlrev_b32_e32 v18, 25, v1
	v_and_b32_e32 v3, v3, v4
	v_cmp_gt_i64_e32 vcc, 0, v[17:18]
	v_not_b32_e32 v4, v18
	v_ashrrev_i32_e32 v4, 31, v4
	v_xor_b32_e32 v18, vcc_hi, v4
	v_and_b32_e32 v2, v2, v18
	v_lshlrev_b32_e32 v18, 24, v1
	v_xor_b32_e32 v4, vcc_lo, v4
	v_cmp_gt_i64_e32 vcc, 0, v[17:18]
	v_not_b32_e32 v1, v18
	v_ashrrev_i32_e32 v1, 31, v1
	v_and_b32_e32 v3, v3, v4
	v_xor_b32_e32 v4, vcc_hi, v1
	v_xor_b32_e32 v1, vcc_lo, v1
	; wave barrier
	ds_read_b32 v76, v77 offset:32
	v_and_b32_e32 v1, v3, v1
	v_and_b32_e32 v2, v2, v4
	v_mbcnt_lo_u32_b32 v3, v1, 0
	v_mbcnt_hi_u32_b32 v78, v2, v3
	v_cmp_ne_u64_e32 vcc, 0, v[1:2]
	v_cmp_eq_u32_e64 s[36:37], 0, v78
	s_and_b64 s[42:43], vcc, s[36:37]
	; wave barrier
	s_and_saveexec_b64 s[36:37], s[42:43]
	s_cbranch_execz .LBB47_22
; %bb.21:                               ;   in Loop: Header=BB47_6 Depth=2
	v_bcnt_u32_b32 v1, v1, 0
	v_bcnt_u32_b32 v1, v2, v1
	s_waitcnt lgkmcnt(0)
	v_add_u32_e32 v1, v76, v1
	ds_write_b32 v77, v1 offset:32
.LBB47_22:                              ;   in Loop: Header=BB47_6 Depth=2
	s_or_b64 exec, exec, s[36:37]
	v_lshrrev_b32_e32 v1, s7, v59
	v_lshlrev_b32_sdwa v2, v50, v1 dst_sel:DWORD dst_unused:UNUSED_PAD src0_sel:DWORD src1_sel:BYTE_0
	v_add_u32_e32 v80, v48, v2
	v_and_b32_e32 v2, 1, v1
	v_add_co_u32_e32 v3, vcc, -1, v2
	v_addc_co_u32_e64 v4, s[36:37], 0, -1, vcc
	v_cmp_ne_u32_e32 vcc, 0, v2
	v_lshlrev_b32_e32 v18, 30, v1
	v_xor_b32_e32 v2, vcc_hi, v4
	v_xor_b32_e32 v3, vcc_lo, v3
	v_cmp_gt_i64_e32 vcc, 0, v[17:18]
	v_not_b32_e32 v4, v18
	v_ashrrev_i32_e32 v4, 31, v4
	v_and_b32_e32 v2, exec_hi, v2
	v_xor_b32_e32 v18, vcc_hi, v4
	v_and_b32_e32 v3, exec_lo, v3
	v_xor_b32_e32 v4, vcc_lo, v4
	v_and_b32_e32 v2, v2, v18
	v_lshlrev_b32_e32 v18, 29, v1
	v_and_b32_e32 v3, v3, v4
	v_cmp_gt_i64_e32 vcc, 0, v[17:18]
	v_not_b32_e32 v4, v18
	v_ashrrev_i32_e32 v4, 31, v4
	v_xor_b32_e32 v18, vcc_hi, v4
	v_xor_b32_e32 v4, vcc_lo, v4
	v_and_b32_e32 v2, v2, v18
	v_lshlrev_b32_e32 v18, 28, v1
	v_and_b32_e32 v3, v3, v4
	v_cmp_gt_i64_e32 vcc, 0, v[17:18]
	v_not_b32_e32 v4, v18
	v_ashrrev_i32_e32 v4, 31, v4
	v_xor_b32_e32 v18, vcc_hi, v4
	v_xor_b32_e32 v4, vcc_lo, v4
	v_and_b32_e32 v2, v2, v18
	v_lshlrev_b32_e32 v18, 27, v1
	v_and_b32_e32 v3, v3, v4
	v_cmp_gt_i64_e32 vcc, 0, v[17:18]
	v_not_b32_e32 v4, v18
	v_ashrrev_i32_e32 v4, 31, v4
	v_xor_b32_e32 v18, vcc_hi, v4
	v_xor_b32_e32 v4, vcc_lo, v4
	v_and_b32_e32 v2, v2, v18
	v_lshlrev_b32_e32 v18, 26, v1
	v_and_b32_e32 v3, v3, v4
	v_cmp_gt_i64_e32 vcc, 0, v[17:18]
	v_not_b32_e32 v4, v18
	v_ashrrev_i32_e32 v4, 31, v4
	v_xor_b32_e32 v18, vcc_hi, v4
	v_xor_b32_e32 v4, vcc_lo, v4
	v_and_b32_e32 v2, v2, v18
	v_lshlrev_b32_e32 v18, 25, v1
	v_and_b32_e32 v3, v3, v4
	v_cmp_gt_i64_e32 vcc, 0, v[17:18]
	v_not_b32_e32 v4, v18
	v_ashrrev_i32_e32 v4, 31, v4
	v_xor_b32_e32 v18, vcc_hi, v4
	v_and_b32_e32 v2, v2, v18
	v_lshlrev_b32_e32 v18, 24, v1
	v_xor_b32_e32 v4, vcc_lo, v4
	v_cmp_gt_i64_e32 vcc, 0, v[17:18]
	v_not_b32_e32 v1, v18
	v_ashrrev_i32_e32 v1, 31, v1
	v_and_b32_e32 v3, v3, v4
	v_xor_b32_e32 v4, vcc_hi, v1
	v_xor_b32_e32 v1, vcc_lo, v1
	; wave barrier
	ds_read_b32 v79, v80 offset:32
	v_and_b32_e32 v1, v3, v1
	v_and_b32_e32 v2, v2, v4
	v_mbcnt_lo_u32_b32 v3, v1, 0
	v_mbcnt_hi_u32_b32 v81, v2, v3
	v_cmp_ne_u64_e32 vcc, 0, v[1:2]
	v_cmp_eq_u32_e64 s[36:37], 0, v81
	s_and_b64 s[42:43], vcc, s[36:37]
	; wave barrier
	s_and_saveexec_b64 s[36:37], s[42:43]
	s_cbranch_execz .LBB47_24
; %bb.23:                               ;   in Loop: Header=BB47_6 Depth=2
	v_bcnt_u32_b32 v1, v1, 0
	v_bcnt_u32_b32 v1, v2, v1
	s_waitcnt lgkmcnt(0)
	v_add_u32_e32 v1, v79, v1
	ds_write_b32 v80, v1 offset:32
.LBB47_24:                              ;   in Loop: Header=BB47_6 Depth=2
	s_or_b64 exec, exec, s[36:37]
	v_lshrrev_b32_e32 v1, s7, v58
	v_lshlrev_b32_sdwa v2, v50, v1 dst_sel:DWORD dst_unused:UNUSED_PAD src0_sel:DWORD src1_sel:BYTE_0
	v_add_u32_e32 v83, v48, v2
	v_and_b32_e32 v2, 1, v1
	v_add_co_u32_e32 v3, vcc, -1, v2
	v_addc_co_u32_e64 v4, s[36:37], 0, -1, vcc
	v_cmp_ne_u32_e32 vcc, 0, v2
	v_lshlrev_b32_e32 v18, 30, v1
	v_xor_b32_e32 v2, vcc_hi, v4
	v_xor_b32_e32 v3, vcc_lo, v3
	v_cmp_gt_i64_e32 vcc, 0, v[17:18]
	v_not_b32_e32 v4, v18
	v_ashrrev_i32_e32 v4, 31, v4
	v_and_b32_e32 v2, exec_hi, v2
	v_xor_b32_e32 v18, vcc_hi, v4
	v_and_b32_e32 v3, exec_lo, v3
	v_xor_b32_e32 v4, vcc_lo, v4
	v_and_b32_e32 v2, v2, v18
	v_lshlrev_b32_e32 v18, 29, v1
	v_and_b32_e32 v3, v3, v4
	v_cmp_gt_i64_e32 vcc, 0, v[17:18]
	v_not_b32_e32 v4, v18
	v_ashrrev_i32_e32 v4, 31, v4
	v_xor_b32_e32 v18, vcc_hi, v4
	v_xor_b32_e32 v4, vcc_lo, v4
	v_and_b32_e32 v2, v2, v18
	v_lshlrev_b32_e32 v18, 28, v1
	v_and_b32_e32 v3, v3, v4
	v_cmp_gt_i64_e32 vcc, 0, v[17:18]
	v_not_b32_e32 v4, v18
	v_ashrrev_i32_e32 v4, 31, v4
	v_xor_b32_e32 v18, vcc_hi, v4
	;; [unrolled: 8-line block ×5, first 2 shown]
	v_and_b32_e32 v2, v2, v18
	v_lshlrev_b32_e32 v18, 24, v1
	v_xor_b32_e32 v4, vcc_lo, v4
	v_cmp_gt_i64_e32 vcc, 0, v[17:18]
	v_not_b32_e32 v1, v18
	v_ashrrev_i32_e32 v1, 31, v1
	v_and_b32_e32 v3, v3, v4
	v_xor_b32_e32 v4, vcc_hi, v1
	v_xor_b32_e32 v1, vcc_lo, v1
	; wave barrier
	ds_read_b32 v82, v83 offset:32
	v_and_b32_e32 v1, v3, v1
	v_and_b32_e32 v2, v2, v4
	v_mbcnt_lo_u32_b32 v3, v1, 0
	v_mbcnt_hi_u32_b32 v84, v2, v3
	v_cmp_ne_u64_e32 vcc, 0, v[1:2]
	v_cmp_eq_u32_e64 s[36:37], 0, v84
	s_and_b64 s[42:43], vcc, s[36:37]
	; wave barrier
	s_and_saveexec_b64 s[36:37], s[42:43]
	s_cbranch_execz .LBB47_26
; %bb.25:                               ;   in Loop: Header=BB47_6 Depth=2
	v_bcnt_u32_b32 v1, v1, 0
	v_bcnt_u32_b32 v1, v2, v1
	s_waitcnt lgkmcnt(0)
	v_add_u32_e32 v1, v82, v1
	ds_write_b32 v83, v1 offset:32
.LBB47_26:                              ;   in Loop: Header=BB47_6 Depth=2
	s_or_b64 exec, exec, s[36:37]
	v_lshrrev_b32_e32 v1, s7, v57
	v_lshlrev_b32_sdwa v2, v50, v1 dst_sel:DWORD dst_unused:UNUSED_PAD src0_sel:DWORD src1_sel:BYTE_0
	v_add_u32_e32 v86, v48, v2
	v_and_b32_e32 v2, 1, v1
	v_add_co_u32_e32 v3, vcc, -1, v2
	v_addc_co_u32_e64 v4, s[36:37], 0, -1, vcc
	v_cmp_ne_u32_e32 vcc, 0, v2
	v_lshlrev_b32_e32 v18, 30, v1
	v_xor_b32_e32 v2, vcc_hi, v4
	v_xor_b32_e32 v3, vcc_lo, v3
	v_cmp_gt_i64_e32 vcc, 0, v[17:18]
	v_not_b32_e32 v4, v18
	v_ashrrev_i32_e32 v4, 31, v4
	v_and_b32_e32 v2, exec_hi, v2
	v_xor_b32_e32 v18, vcc_hi, v4
	v_and_b32_e32 v3, exec_lo, v3
	v_xor_b32_e32 v4, vcc_lo, v4
	v_and_b32_e32 v2, v2, v18
	v_lshlrev_b32_e32 v18, 29, v1
	v_and_b32_e32 v3, v3, v4
	v_cmp_gt_i64_e32 vcc, 0, v[17:18]
	v_not_b32_e32 v4, v18
	v_ashrrev_i32_e32 v4, 31, v4
	v_xor_b32_e32 v18, vcc_hi, v4
	v_xor_b32_e32 v4, vcc_lo, v4
	v_and_b32_e32 v2, v2, v18
	v_lshlrev_b32_e32 v18, 28, v1
	v_and_b32_e32 v3, v3, v4
	v_cmp_gt_i64_e32 vcc, 0, v[17:18]
	v_not_b32_e32 v4, v18
	v_ashrrev_i32_e32 v4, 31, v4
	v_xor_b32_e32 v18, vcc_hi, v4
	;; [unrolled: 8-line block ×5, first 2 shown]
	v_and_b32_e32 v2, v2, v18
	v_lshlrev_b32_e32 v18, 24, v1
	v_xor_b32_e32 v4, vcc_lo, v4
	v_cmp_gt_i64_e32 vcc, 0, v[17:18]
	v_not_b32_e32 v1, v18
	v_ashrrev_i32_e32 v1, 31, v1
	v_and_b32_e32 v3, v3, v4
	v_xor_b32_e32 v4, vcc_hi, v1
	v_xor_b32_e32 v1, vcc_lo, v1
	; wave barrier
	ds_read_b32 v85, v86 offset:32
	v_and_b32_e32 v1, v3, v1
	v_and_b32_e32 v2, v2, v4
	v_mbcnt_lo_u32_b32 v3, v1, 0
	v_mbcnt_hi_u32_b32 v87, v2, v3
	v_cmp_ne_u64_e32 vcc, 0, v[1:2]
	v_cmp_eq_u32_e64 s[36:37], 0, v87
	s_and_b64 s[42:43], vcc, s[36:37]
	; wave barrier
	s_and_saveexec_b64 s[36:37], s[42:43]
	s_cbranch_execz .LBB47_28
; %bb.27:                               ;   in Loop: Header=BB47_6 Depth=2
	v_bcnt_u32_b32 v1, v1, 0
	v_bcnt_u32_b32 v1, v2, v1
	s_waitcnt lgkmcnt(0)
	v_add_u32_e32 v1, v85, v1
	ds_write_b32 v86, v1 offset:32
.LBB47_28:                              ;   in Loop: Header=BB47_6 Depth=2
	s_or_b64 exec, exec, s[36:37]
	v_lshrrev_b32_e32 v1, s7, v56
	v_lshlrev_b32_sdwa v2, v50, v1 dst_sel:DWORD dst_unused:UNUSED_PAD src0_sel:DWORD src1_sel:BYTE_0
	v_add_u32_e32 v89, v48, v2
	v_and_b32_e32 v2, 1, v1
	v_add_co_u32_e32 v3, vcc, -1, v2
	v_addc_co_u32_e64 v4, s[36:37], 0, -1, vcc
	v_cmp_ne_u32_e32 vcc, 0, v2
	v_lshlrev_b32_e32 v18, 30, v1
	v_xor_b32_e32 v2, vcc_hi, v4
	v_xor_b32_e32 v3, vcc_lo, v3
	v_cmp_gt_i64_e32 vcc, 0, v[17:18]
	v_not_b32_e32 v4, v18
	v_ashrrev_i32_e32 v4, 31, v4
	v_and_b32_e32 v2, exec_hi, v2
	v_xor_b32_e32 v18, vcc_hi, v4
	v_and_b32_e32 v3, exec_lo, v3
	v_xor_b32_e32 v4, vcc_lo, v4
	v_and_b32_e32 v2, v2, v18
	v_lshlrev_b32_e32 v18, 29, v1
	v_and_b32_e32 v3, v3, v4
	v_cmp_gt_i64_e32 vcc, 0, v[17:18]
	v_not_b32_e32 v4, v18
	v_ashrrev_i32_e32 v4, 31, v4
	v_xor_b32_e32 v18, vcc_hi, v4
	v_xor_b32_e32 v4, vcc_lo, v4
	v_and_b32_e32 v2, v2, v18
	v_lshlrev_b32_e32 v18, 28, v1
	v_and_b32_e32 v3, v3, v4
	v_cmp_gt_i64_e32 vcc, 0, v[17:18]
	v_not_b32_e32 v4, v18
	v_ashrrev_i32_e32 v4, 31, v4
	v_xor_b32_e32 v18, vcc_hi, v4
	;; [unrolled: 8-line block ×5, first 2 shown]
	v_and_b32_e32 v2, v2, v18
	v_lshlrev_b32_e32 v18, 24, v1
	v_xor_b32_e32 v4, vcc_lo, v4
	v_cmp_gt_i64_e32 vcc, 0, v[17:18]
	v_not_b32_e32 v1, v18
	v_ashrrev_i32_e32 v1, 31, v1
	v_and_b32_e32 v3, v3, v4
	v_xor_b32_e32 v4, vcc_hi, v1
	v_xor_b32_e32 v1, vcc_lo, v1
	; wave barrier
	ds_read_b32 v88, v89 offset:32
	v_and_b32_e32 v1, v3, v1
	v_and_b32_e32 v2, v2, v4
	v_mbcnt_lo_u32_b32 v3, v1, 0
	v_mbcnt_hi_u32_b32 v90, v2, v3
	v_cmp_ne_u64_e32 vcc, 0, v[1:2]
	v_cmp_eq_u32_e64 s[36:37], 0, v90
	s_and_b64 s[42:43], vcc, s[36:37]
	; wave barrier
	s_and_saveexec_b64 s[36:37], s[42:43]
	s_cbranch_execz .LBB47_30
; %bb.29:                               ;   in Loop: Header=BB47_6 Depth=2
	v_bcnt_u32_b32 v1, v1, 0
	v_bcnt_u32_b32 v1, v2, v1
	s_waitcnt lgkmcnt(0)
	v_add_u32_e32 v1, v88, v1
	ds_write_b32 v89, v1 offset:32
.LBB47_30:                              ;   in Loop: Header=BB47_6 Depth=2
	s_or_b64 exec, exec, s[36:37]
	v_lshrrev_b32_e32 v1, s7, v55
	v_lshlrev_b32_sdwa v2, v50, v1 dst_sel:DWORD dst_unused:UNUSED_PAD src0_sel:DWORD src1_sel:BYTE_0
	v_add_u32_e32 v92, v48, v2
	v_and_b32_e32 v2, 1, v1
	v_add_co_u32_e32 v3, vcc, -1, v2
	v_addc_co_u32_e64 v4, s[36:37], 0, -1, vcc
	v_cmp_ne_u32_e32 vcc, 0, v2
	v_lshlrev_b32_e32 v18, 30, v1
	v_xor_b32_e32 v2, vcc_hi, v4
	v_xor_b32_e32 v3, vcc_lo, v3
	v_cmp_gt_i64_e32 vcc, 0, v[17:18]
	v_not_b32_e32 v4, v18
	v_ashrrev_i32_e32 v4, 31, v4
	v_and_b32_e32 v2, exec_hi, v2
	v_xor_b32_e32 v18, vcc_hi, v4
	v_and_b32_e32 v3, exec_lo, v3
	v_xor_b32_e32 v4, vcc_lo, v4
	v_and_b32_e32 v2, v2, v18
	v_lshlrev_b32_e32 v18, 29, v1
	v_and_b32_e32 v3, v3, v4
	v_cmp_gt_i64_e32 vcc, 0, v[17:18]
	v_not_b32_e32 v4, v18
	v_ashrrev_i32_e32 v4, 31, v4
	v_xor_b32_e32 v18, vcc_hi, v4
	v_xor_b32_e32 v4, vcc_lo, v4
	v_and_b32_e32 v2, v2, v18
	v_lshlrev_b32_e32 v18, 28, v1
	v_and_b32_e32 v3, v3, v4
	v_cmp_gt_i64_e32 vcc, 0, v[17:18]
	v_not_b32_e32 v4, v18
	v_ashrrev_i32_e32 v4, 31, v4
	v_xor_b32_e32 v18, vcc_hi, v4
	;; [unrolled: 8-line block ×5, first 2 shown]
	v_and_b32_e32 v2, v2, v18
	v_lshlrev_b32_e32 v18, 24, v1
	v_xor_b32_e32 v4, vcc_lo, v4
	v_cmp_gt_i64_e32 vcc, 0, v[17:18]
	v_not_b32_e32 v1, v18
	v_ashrrev_i32_e32 v1, 31, v1
	v_and_b32_e32 v3, v3, v4
	v_xor_b32_e32 v4, vcc_hi, v1
	v_xor_b32_e32 v1, vcc_lo, v1
	; wave barrier
	ds_read_b32 v91, v92 offset:32
	v_and_b32_e32 v1, v3, v1
	v_and_b32_e32 v2, v2, v4
	v_mbcnt_lo_u32_b32 v3, v1, 0
	v_mbcnt_hi_u32_b32 v93, v2, v3
	v_cmp_ne_u64_e32 vcc, 0, v[1:2]
	v_cmp_eq_u32_e64 s[36:37], 0, v93
	s_and_b64 s[42:43], vcc, s[36:37]
	; wave barrier
	s_and_saveexec_b64 s[36:37], s[42:43]
	s_cbranch_execz .LBB47_32
; %bb.31:                               ;   in Loop: Header=BB47_6 Depth=2
	v_bcnt_u32_b32 v1, v1, 0
	v_bcnt_u32_b32 v1, v2, v1
	s_waitcnt lgkmcnt(0)
	v_add_u32_e32 v1, v91, v1
	ds_write_b32 v92, v1 offset:32
.LBB47_32:                              ;   in Loop: Header=BB47_6 Depth=2
	s_or_b64 exec, exec, s[36:37]
	v_lshrrev_b32_e32 v1, s7, v54
	v_lshlrev_b32_sdwa v2, v50, v1 dst_sel:DWORD dst_unused:UNUSED_PAD src0_sel:DWORD src1_sel:BYTE_0
	v_add_u32_e32 v95, v48, v2
	v_and_b32_e32 v2, 1, v1
	v_add_co_u32_e32 v3, vcc, -1, v2
	v_addc_co_u32_e64 v4, s[36:37], 0, -1, vcc
	v_cmp_ne_u32_e32 vcc, 0, v2
	v_lshlrev_b32_e32 v18, 30, v1
	v_xor_b32_e32 v2, vcc_hi, v4
	v_xor_b32_e32 v3, vcc_lo, v3
	v_cmp_gt_i64_e32 vcc, 0, v[17:18]
	v_not_b32_e32 v4, v18
	v_ashrrev_i32_e32 v4, 31, v4
	v_and_b32_e32 v2, exec_hi, v2
	v_xor_b32_e32 v18, vcc_hi, v4
	v_and_b32_e32 v3, exec_lo, v3
	v_xor_b32_e32 v4, vcc_lo, v4
	v_and_b32_e32 v2, v2, v18
	v_lshlrev_b32_e32 v18, 29, v1
	v_and_b32_e32 v3, v3, v4
	v_cmp_gt_i64_e32 vcc, 0, v[17:18]
	v_not_b32_e32 v4, v18
	v_ashrrev_i32_e32 v4, 31, v4
	v_xor_b32_e32 v18, vcc_hi, v4
	v_xor_b32_e32 v4, vcc_lo, v4
	v_and_b32_e32 v2, v2, v18
	v_lshlrev_b32_e32 v18, 28, v1
	v_and_b32_e32 v3, v3, v4
	v_cmp_gt_i64_e32 vcc, 0, v[17:18]
	v_not_b32_e32 v4, v18
	v_ashrrev_i32_e32 v4, 31, v4
	v_xor_b32_e32 v18, vcc_hi, v4
	;; [unrolled: 8-line block ×5, first 2 shown]
	v_and_b32_e32 v2, v2, v18
	v_lshlrev_b32_e32 v18, 24, v1
	v_xor_b32_e32 v4, vcc_lo, v4
	v_cmp_gt_i64_e32 vcc, 0, v[17:18]
	v_not_b32_e32 v1, v18
	v_ashrrev_i32_e32 v1, 31, v1
	v_and_b32_e32 v3, v3, v4
	v_xor_b32_e32 v4, vcc_hi, v1
	v_xor_b32_e32 v1, vcc_lo, v1
	; wave barrier
	ds_read_b32 v94, v95 offset:32
	v_and_b32_e32 v1, v3, v1
	v_and_b32_e32 v2, v2, v4
	v_mbcnt_lo_u32_b32 v3, v1, 0
	v_mbcnt_hi_u32_b32 v96, v2, v3
	v_cmp_ne_u64_e32 vcc, 0, v[1:2]
	v_cmp_eq_u32_e64 s[36:37], 0, v96
	s_and_b64 s[42:43], vcc, s[36:37]
	; wave barrier
	s_and_saveexec_b64 s[36:37], s[42:43]
	s_cbranch_execz .LBB47_34
; %bb.33:                               ;   in Loop: Header=BB47_6 Depth=2
	v_bcnt_u32_b32 v1, v1, 0
	v_bcnt_u32_b32 v1, v2, v1
	s_waitcnt lgkmcnt(0)
	v_add_u32_e32 v1, v94, v1
	ds_write_b32 v95, v1 offset:32
.LBB47_34:                              ;   in Loop: Header=BB47_6 Depth=2
	s_or_b64 exec, exec, s[36:37]
	v_lshrrev_b32_e32 v1, s7, v53
	v_lshlrev_b32_sdwa v2, v50, v1 dst_sel:DWORD dst_unused:UNUSED_PAD src0_sel:DWORD src1_sel:BYTE_0
	v_add_u32_e32 v98, v48, v2
	v_and_b32_e32 v2, 1, v1
	v_add_co_u32_e32 v3, vcc, -1, v2
	v_addc_co_u32_e64 v4, s[36:37], 0, -1, vcc
	v_cmp_ne_u32_e32 vcc, 0, v2
	v_lshlrev_b32_e32 v18, 30, v1
	v_xor_b32_e32 v2, vcc_hi, v4
	v_xor_b32_e32 v3, vcc_lo, v3
	v_cmp_gt_i64_e32 vcc, 0, v[17:18]
	v_not_b32_e32 v4, v18
	v_ashrrev_i32_e32 v4, 31, v4
	v_and_b32_e32 v2, exec_hi, v2
	v_xor_b32_e32 v18, vcc_hi, v4
	v_and_b32_e32 v3, exec_lo, v3
	v_xor_b32_e32 v4, vcc_lo, v4
	v_and_b32_e32 v2, v2, v18
	v_lshlrev_b32_e32 v18, 29, v1
	v_and_b32_e32 v3, v3, v4
	v_cmp_gt_i64_e32 vcc, 0, v[17:18]
	v_not_b32_e32 v4, v18
	v_ashrrev_i32_e32 v4, 31, v4
	v_xor_b32_e32 v18, vcc_hi, v4
	v_xor_b32_e32 v4, vcc_lo, v4
	v_and_b32_e32 v2, v2, v18
	v_lshlrev_b32_e32 v18, 28, v1
	v_and_b32_e32 v3, v3, v4
	v_cmp_gt_i64_e32 vcc, 0, v[17:18]
	v_not_b32_e32 v4, v18
	v_ashrrev_i32_e32 v4, 31, v4
	v_xor_b32_e32 v18, vcc_hi, v4
	;; [unrolled: 8-line block ×5, first 2 shown]
	v_and_b32_e32 v2, v2, v18
	v_lshlrev_b32_e32 v18, 24, v1
	v_xor_b32_e32 v4, vcc_lo, v4
	v_cmp_gt_i64_e32 vcc, 0, v[17:18]
	v_not_b32_e32 v1, v18
	v_ashrrev_i32_e32 v1, 31, v1
	v_and_b32_e32 v3, v3, v4
	v_xor_b32_e32 v4, vcc_hi, v1
	v_xor_b32_e32 v1, vcc_lo, v1
	; wave barrier
	ds_read_b32 v97, v98 offset:32
	v_and_b32_e32 v1, v3, v1
	v_and_b32_e32 v2, v2, v4
	v_mbcnt_lo_u32_b32 v3, v1, 0
	v_mbcnt_hi_u32_b32 v99, v2, v3
	v_cmp_ne_u64_e32 vcc, 0, v[1:2]
	v_cmp_eq_u32_e64 s[36:37], 0, v99
	s_and_b64 s[42:43], vcc, s[36:37]
	; wave barrier
	s_and_saveexec_b64 s[36:37], s[42:43]
	s_cbranch_execz .LBB47_36
; %bb.35:                               ;   in Loop: Header=BB47_6 Depth=2
	v_bcnt_u32_b32 v1, v1, 0
	v_bcnt_u32_b32 v1, v2, v1
	s_waitcnt lgkmcnt(0)
	v_add_u32_e32 v1, v97, v1
	ds_write_b32 v98, v1 offset:32
.LBB47_36:                              ;   in Loop: Header=BB47_6 Depth=2
	s_or_b64 exec, exec, s[36:37]
	v_lshrrev_b32_e32 v1, s7, v52
	v_lshlrev_b32_sdwa v2, v50, v1 dst_sel:DWORD dst_unused:UNUSED_PAD src0_sel:DWORD src1_sel:BYTE_0
	v_add_u32_e32 v101, v48, v2
	v_and_b32_e32 v2, 1, v1
	v_add_co_u32_e32 v3, vcc, -1, v2
	v_addc_co_u32_e64 v4, s[36:37], 0, -1, vcc
	v_cmp_ne_u32_e32 vcc, 0, v2
	v_lshlrev_b32_e32 v18, 30, v1
	v_xor_b32_e32 v2, vcc_hi, v4
	v_xor_b32_e32 v3, vcc_lo, v3
	v_cmp_gt_i64_e32 vcc, 0, v[17:18]
	v_not_b32_e32 v4, v18
	v_ashrrev_i32_e32 v4, 31, v4
	v_and_b32_e32 v2, exec_hi, v2
	v_xor_b32_e32 v18, vcc_hi, v4
	v_and_b32_e32 v3, exec_lo, v3
	v_xor_b32_e32 v4, vcc_lo, v4
	v_and_b32_e32 v2, v2, v18
	v_lshlrev_b32_e32 v18, 29, v1
	v_and_b32_e32 v3, v3, v4
	v_cmp_gt_i64_e32 vcc, 0, v[17:18]
	v_not_b32_e32 v4, v18
	v_ashrrev_i32_e32 v4, 31, v4
	v_xor_b32_e32 v18, vcc_hi, v4
	v_xor_b32_e32 v4, vcc_lo, v4
	v_and_b32_e32 v2, v2, v18
	v_lshlrev_b32_e32 v18, 28, v1
	v_and_b32_e32 v3, v3, v4
	v_cmp_gt_i64_e32 vcc, 0, v[17:18]
	v_not_b32_e32 v4, v18
	v_ashrrev_i32_e32 v4, 31, v4
	v_xor_b32_e32 v18, vcc_hi, v4
	;; [unrolled: 8-line block ×5, first 2 shown]
	v_and_b32_e32 v2, v2, v18
	v_lshlrev_b32_e32 v18, 24, v1
	v_xor_b32_e32 v4, vcc_lo, v4
	v_cmp_gt_i64_e32 vcc, 0, v[17:18]
	v_not_b32_e32 v1, v18
	v_ashrrev_i32_e32 v1, 31, v1
	v_and_b32_e32 v3, v3, v4
	v_xor_b32_e32 v4, vcc_hi, v1
	v_xor_b32_e32 v1, vcc_lo, v1
	; wave barrier
	ds_read_b32 v100, v101 offset:32
	v_and_b32_e32 v1, v3, v1
	v_and_b32_e32 v2, v2, v4
	v_mbcnt_lo_u32_b32 v3, v1, 0
	v_mbcnt_hi_u32_b32 v102, v2, v3
	v_cmp_ne_u64_e32 vcc, 0, v[1:2]
	v_cmp_eq_u32_e64 s[36:37], 0, v102
	s_and_b64 s[42:43], vcc, s[36:37]
	; wave barrier
	s_and_saveexec_b64 s[36:37], s[42:43]
	s_cbranch_execz .LBB47_38
; %bb.37:                               ;   in Loop: Header=BB47_6 Depth=2
	v_bcnt_u32_b32 v1, v1, 0
	v_bcnt_u32_b32 v1, v2, v1
	s_waitcnt lgkmcnt(0)
	v_add_u32_e32 v1, v100, v1
	ds_write_b32 v101, v1 offset:32
.LBB47_38:                              ;   in Loop: Header=BB47_6 Depth=2
	s_or_b64 exec, exec, s[36:37]
	; wave barrier
	s_waitcnt lgkmcnt(0)
	s_barrier
	ds_read2_b64 v[1:4], v23 offset0:4 offset1:5
	s_waitcnt lgkmcnt(0)
	v_add_u32_e32 v18, v2, v1
	v_add3_u32 v4, v18, v3, v4
	s_nop 1
	v_mov_b32_dpp v18, v4 row_shr:1 row_mask:0xf bank_mask:0xf
	v_cndmask_b32_e64 v18, v18, 0, s[14:15]
	v_add_u32_e32 v4, v18, v4
	s_nop 1
	v_mov_b32_dpp v18, v4 row_shr:2 row_mask:0xf bank_mask:0xf
	v_cndmask_b32_e64 v18, 0, v18, s[16:17]
	v_add_u32_e32 v4, v4, v18
	;; [unrolled: 4-line block ×4, first 2 shown]
	s_nop 1
	v_mov_b32_dpp v18, v4 row_bcast:15 row_mask:0xf bank_mask:0xf
	v_cndmask_b32_e64 v18, v18, 0, s[22:23]
	v_add_u32_e32 v4, v4, v18
	s_nop 1
	v_mov_b32_dpp v18, v4 row_bcast:31 row_mask:0xf bank_mask:0xf
	v_cndmask_b32_e64 v18, 0, v18, s[10:11]
	v_add_u32_e32 v4, v4, v18
	s_and_saveexec_b64 s[36:37], s[24:25]
; %bb.39:                               ;   in Loop: Header=BB47_6 Depth=2
	ds_write_b32 v26, v4
; %bb.40:                               ;   in Loop: Header=BB47_6 Depth=2
	s_or_b64 exec, exec, s[36:37]
	s_waitcnt lgkmcnt(0)
	s_barrier
	s_and_saveexec_b64 s[36:37], s[2:3]
	s_cbranch_execz .LBB47_42
; %bb.41:                               ;   in Loop: Header=BB47_6 Depth=2
	ds_read_b32 v18, v27
	s_waitcnt lgkmcnt(0)
	s_nop 0
	v_mov_b32_dpp v103, v18 row_shr:1 row_mask:0xf bank_mask:0xf
	v_cndmask_b32_e64 v103, v103, 0, s[26:27]
	v_add_u32_e32 v18, v103, v18
	s_nop 1
	v_mov_b32_dpp v103, v18 row_shr:2 row_mask:0xf bank_mask:0xf
	v_cndmask_b32_e64 v103, 0, v103, s[28:29]
	v_add_u32_e32 v18, v18, v103
	;; [unrolled: 4-line block ×3, first 2 shown]
	ds_write_b32 v27, v18
.LBB47_42:                              ;   in Loop: Header=BB47_6 Depth=2
	s_or_b64 exec, exec, s[36:37]
	v_mov_b32_e32 v18, 0
	s_waitcnt lgkmcnt(0)
	s_barrier
	s_and_saveexec_b64 s[36:37], s[4:5]
; %bb.43:                               ;   in Loop: Header=BB47_6 Depth=2
	ds_read_b32 v18, v44
; %bb.44:                               ;   in Loop: Header=BB47_6 Depth=2
	s_or_b64 exec, exec, s[36:37]
	s_waitcnt lgkmcnt(0)
	v_add_u32_e32 v4, v18, v4
	ds_bpermute_b32 v4, v47, v4
	s_cmp_gt_u32 s7, 23
	s_waitcnt lgkmcnt(0)
	v_cndmask_b32_e64 v4, v4, v18, s[12:13]
	v_cndmask_b32_e64 v103, v4, 0, s[34:35]
	v_add_u32_e32 v104, v103, v1
	v_add_u32_e32 v1, v104, v2
	;; [unrolled: 1-line block ×3, first 2 shown]
	ds_write2_b64 v23, v[103:104], v[1:2] offset0:4 offset1:5
	s_waitcnt lgkmcnt(0)
	s_barrier
	ds_read_b32 v1, v8 offset:32
	ds_read_b32 v2, v83 offset:32
	;; [unrolled: 1-line block ×8, first 2 shown]
	s_waitcnt lgkmcnt(7)
	v_add_u32_e32 v83, v1, v5
	ds_read_b32 v1, v7 offset:32
	ds_read_b32 v5, v11 offset:32
	;; [unrolled: 1-line block ×8, first 2 shown]
	s_waitcnt lgkmcnt(7)
	v_add3_u32 v95, v9, v6, v1
	s_waitcnt lgkmcnt(6)
	v_add3_u32 v92, v12, v10, v5
	;; [unrolled: 2-line block ×8, first 2 shown]
	v_add3_u32 v73, v84, v82, v2
	v_add3_u32 v72, v87, v85, v3
	v_add3_u32 v71, v90, v88, v4
	v_add3_u32 v70, v93, v91, v8
	v_add3_u32 v68, v96, v94, v18
	v_add3_u32 v18, v99, v97, v98
	v_add3_u32 v69, v102, v100, v101
	s_cbranch_scc0 .LBB47_5
; %bb.45:                               ;   in Loop: Header=BB47_2 Depth=1
                                        ; implicit-def: $sgpr7
                                        ; implicit-def: $vgpr1
                                        ; implicit-def: $vgpr3
                                        ; implicit-def: $vgpr5
                                        ; implicit-def: $vgpr7
                                        ; implicit-def: $vgpr9
                                        ; implicit-def: $vgpr11
                                        ; implicit-def: $vgpr13
                                        ; implicit-def: $vgpr15
.LBB47_46:                              ;   in Loop: Header=BB47_2 Depth=1
	v_lshlrev_b32_e32 v1, 2, v83
	s_barrier
	ds_write_b32 v1, v67
	v_lshlrev_b32_e32 v1, 2, v95
	ds_write_b32 v1, v66
	v_lshlrev_b32_e32 v1, 2, v92
	;; [unrolled: 2-line block ×15, first 2 shown]
	ds_write_b32 v1, v52
	s_waitcnt lgkmcnt(0)
	s_barrier
	ds_read2_b64 v[1:4], v45 offset0:6 offset1:7
	ds_read2_b64 v[5:8], v45 offset0:4 offset1:5
	ds_read2_b64 v[13:16], v45 offset1:1
	ds_read2_b64 v[9:12], v45 offset0:2 offset1:3
	s_waitcnt lgkmcnt(0)
	v_xor_b32_e32 v18, 0x80000000, v3
	v_xor_b32_e32 v52, 0x80000000, v4
	v_cmp_ne_u32_e32 vcc, v3, v4
	v_lshlrev_b32_e32 v18, 2, v18
	s_barrier
	ds_write2st64_b32 v51, v49, v49 offset0:16 offset1:24
	s_waitcnt lgkmcnt(0)
	s_barrier
	ds_write_b32 v27, v52
	s_and_saveexec_b64 s[36:37], vcc
	s_cbranch_execz .LBB47_48
; %bb.47:                               ;   in Loop: Header=BB47_2 Depth=1
	v_lshlrev_b32_e32 v52, 2, v52
	ds_write_b32 v52, v28 offset:4096
	ds_write_b32 v18, v28 offset:6144
.LBB47_48:                              ;   in Loop: Header=BB47_2 Depth=1
	s_or_b64 exec, exec, s[36:37]
	v_xor_b32_e32 v52, 0x80000000, v2
	v_cmp_ne_u32_e32 vcc, v2, v3
	v_lshlrev_b32_e32 v52, 2, v52
	s_and_saveexec_b64 s[36:37], vcc
	s_cbranch_execz .LBB47_50
; %bb.49:                               ;   in Loop: Header=BB47_2 Depth=1
	ds_write_b32 v18, v29 offset:4096
	ds_write_b32 v52, v29 offset:6144
.LBB47_50:                              ;   in Loop: Header=BB47_2 Depth=1
	s_or_b64 exec, exec, s[36:37]
	v_xor_b32_e32 v18, 0x80000000, v1
	v_cmp_ne_u32_e32 vcc, v1, v2
	v_lshlrev_b32_e32 v18, 2, v18
	s_and_saveexec_b64 s[36:37], vcc
	s_cbranch_execz .LBB47_52
; %bb.51:                               ;   in Loop: Header=BB47_2 Depth=1
	ds_write_b32 v52, v30 offset:4096
	ds_write_b32 v18, v30 offset:6144
.LBB47_52:                              ;   in Loop: Header=BB47_2 Depth=1
	;; [unrolled: 10-line block ×14, first 2 shown]
	s_or_b64 exec, exec, s[36:37]
	s_waitcnt lgkmcnt(0)
	s_barrier
	s_and_saveexec_b64 s[36:37], s[8:9]
	s_cbranch_execz .LBB47_79
; %bb.77:                               ;   in Loop: Header=BB47_2 Depth=1
	ds_read_b32 v53, v46
	s_waitcnt lgkmcnt(0)
	v_cmp_ne_u32_e32 vcc, v53, v52
	s_and_b64 exec, exec, vcc
	s_cbranch_execz .LBB47_79
; %bb.78:                               ;   in Loop: Header=BB47_2 Depth=1
	v_lshlrev_b32_e32 v52, 2, v53
	ds_write_b32 v18, v23 offset:4096
	ds_write_b32 v52, v23 offset:6144
.LBB47_79:                              ;   in Loop: Header=BB47_2 Depth=1
	s_or_b64 exec, exec, s[36:37]
	s_waitcnt lgkmcnt(0)
	s_barrier
	s_and_saveexec_b64 s[36:37], s[34:35]
	s_cbranch_execz .LBB47_1
; %bb.80:                               ;   in Loop: Header=BB47_2 Depth=1
	ds_write_b32 v18, v17 offset:4096
	s_branch .LBB47_1
.LBB47_81:
	v_lshl_or_b32 v0, s6, 9, v0
	v_mov_b32_e32 v1, 0
	v_lshlrev_b64 v[0:1], 2, v[0:1]
	v_mov_b32_e32 v2, s39
	v_add_co_u32_e32 v0, vcc, s38, v0
	v_addc_co_u32_e32 v1, vcc, v2, v1, vcc
	global_store_dword v[0:1], v18, off
	s_endpgm
	.section	.rodata,"a",@progbits
	.p2align	6, 0x0
	.amdhsa_kernel _Z6kernelI9histogramILN6hipcub23BlockHistogramAlgorithmE1EEiLj512ELj16ELj512ELj100EEvPKT0_PS4_
		.amdhsa_group_segment_fixed_size 34816
		.amdhsa_private_segment_fixed_size 0
		.amdhsa_kernarg_size 272
		.amdhsa_user_sgpr_count 6
		.amdhsa_user_sgpr_private_segment_buffer 1
		.amdhsa_user_sgpr_dispatch_ptr 0
		.amdhsa_user_sgpr_queue_ptr 0
		.amdhsa_user_sgpr_kernarg_segment_ptr 1
		.amdhsa_user_sgpr_dispatch_id 0
		.amdhsa_user_sgpr_flat_scratch_init 0
		.amdhsa_user_sgpr_private_segment_size 0
		.amdhsa_uses_dynamic_stack 0
		.amdhsa_system_sgpr_private_segment_wavefront_offset 0
		.amdhsa_system_sgpr_workgroup_id_x 1
		.amdhsa_system_sgpr_workgroup_id_y 0
		.amdhsa_system_sgpr_workgroup_id_z 0
		.amdhsa_system_sgpr_workgroup_info 0
		.amdhsa_system_vgpr_workitem_id 2
		.amdhsa_next_free_vgpr 105
		.amdhsa_next_free_sgpr 98
		.amdhsa_reserve_vcc 1
		.amdhsa_reserve_flat_scratch 0
		.amdhsa_float_round_mode_32 0
		.amdhsa_float_round_mode_16_64 0
		.amdhsa_float_denorm_mode_32 3
		.amdhsa_float_denorm_mode_16_64 3
		.amdhsa_dx10_clamp 1
		.amdhsa_ieee_mode 1
		.amdhsa_fp16_overflow 0
		.amdhsa_exception_fp_ieee_invalid_op 0
		.amdhsa_exception_fp_denorm_src 0
		.amdhsa_exception_fp_ieee_div_zero 0
		.amdhsa_exception_fp_ieee_overflow 0
		.amdhsa_exception_fp_ieee_underflow 0
		.amdhsa_exception_fp_ieee_inexact 0
		.amdhsa_exception_int_div_zero 0
	.end_amdhsa_kernel
	.section	.text._Z6kernelI9histogramILN6hipcub23BlockHistogramAlgorithmE1EEiLj512ELj16ELj512ELj100EEvPKT0_PS4_,"axG",@progbits,_Z6kernelI9histogramILN6hipcub23BlockHistogramAlgorithmE1EEiLj512ELj16ELj512ELj100EEvPKT0_PS4_,comdat
.Lfunc_end47:
	.size	_Z6kernelI9histogramILN6hipcub23BlockHistogramAlgorithmE1EEiLj512ELj16ELj512ELj100EEvPKT0_PS4_, .Lfunc_end47-_Z6kernelI9histogramILN6hipcub23BlockHistogramAlgorithmE1EEiLj512ELj16ELj512ELj100EEvPKT0_PS4_
                                        ; -- End function
	.set _Z6kernelI9histogramILN6hipcub23BlockHistogramAlgorithmE1EEiLj512ELj16ELj512ELj100EEvPKT0_PS4_.num_vgpr, 105
	.set _Z6kernelI9histogramILN6hipcub23BlockHistogramAlgorithmE1EEiLj512ELj16ELj512ELj100EEvPKT0_PS4_.num_agpr, 0
	.set _Z6kernelI9histogramILN6hipcub23BlockHistogramAlgorithmE1EEiLj512ELj16ELj512ELj100EEvPKT0_PS4_.numbered_sgpr, 44
	.set _Z6kernelI9histogramILN6hipcub23BlockHistogramAlgorithmE1EEiLj512ELj16ELj512ELj100EEvPKT0_PS4_.num_named_barrier, 0
	.set _Z6kernelI9histogramILN6hipcub23BlockHistogramAlgorithmE1EEiLj512ELj16ELj512ELj100EEvPKT0_PS4_.private_seg_size, 0
	.set _Z6kernelI9histogramILN6hipcub23BlockHistogramAlgorithmE1EEiLj512ELj16ELj512ELj100EEvPKT0_PS4_.uses_vcc, 1
	.set _Z6kernelI9histogramILN6hipcub23BlockHistogramAlgorithmE1EEiLj512ELj16ELj512ELj100EEvPKT0_PS4_.uses_flat_scratch, 0
	.set _Z6kernelI9histogramILN6hipcub23BlockHistogramAlgorithmE1EEiLj512ELj16ELj512ELj100EEvPKT0_PS4_.has_dyn_sized_stack, 0
	.set _Z6kernelI9histogramILN6hipcub23BlockHistogramAlgorithmE1EEiLj512ELj16ELj512ELj100EEvPKT0_PS4_.has_recursion, 0
	.set _Z6kernelI9histogramILN6hipcub23BlockHistogramAlgorithmE1EEiLj512ELj16ELj512ELj100EEvPKT0_PS4_.has_indirect_call, 0
	.section	.AMDGPU.csdata,"",@progbits
; Kernel info:
; codeLenInByte = 8732
; TotalNumSgprs: 48
; NumVgprs: 105
; ScratchSize: 0
; MemoryBound: 0
; FloatMode: 240
; IeeeMode: 1
; LDSByteSize: 34816 bytes/workgroup (compile time only)
; SGPRBlocks: 12
; VGPRBlocks: 26
; NumSGPRsForWavesPerEU: 102
; NumVGPRsForWavesPerEU: 105
; Occupancy: 2
; WaveLimiterHint : 0
; COMPUTE_PGM_RSRC2:SCRATCH_EN: 0
; COMPUTE_PGM_RSRC2:USER_SGPR: 6
; COMPUTE_PGM_RSRC2:TRAP_HANDLER: 0
; COMPUTE_PGM_RSRC2:TGID_X_EN: 1
; COMPUTE_PGM_RSRC2:TGID_Y_EN: 0
; COMPUTE_PGM_RSRC2:TGID_Z_EN: 0
; COMPUTE_PGM_RSRC2:TIDIG_COMP_CNT: 2
	.section	.text._Z6kernelI9histogramILN6hipcub23BlockHistogramAlgorithmE1EEyLj256ELj1ELj256ELj100EEvPKT0_PS4_,"axG",@progbits,_Z6kernelI9histogramILN6hipcub23BlockHistogramAlgorithmE1EEyLj256ELj1ELj256ELj100EEvPKT0_PS4_,comdat
	.protected	_Z6kernelI9histogramILN6hipcub23BlockHistogramAlgorithmE1EEyLj256ELj1ELj256ELj100EEvPKT0_PS4_ ; -- Begin function _Z6kernelI9histogramILN6hipcub23BlockHistogramAlgorithmE1EEyLj256ELj1ELj256ELj100EEvPKT0_PS4_
	.globl	_Z6kernelI9histogramILN6hipcub23BlockHistogramAlgorithmE1EEyLj256ELj1ELj256ELj100EEvPKT0_PS4_
	.p2align	8
	.type	_Z6kernelI9histogramILN6hipcub23BlockHistogramAlgorithmE1EEyLj256ELj1ELj256ELj100EEvPKT0_PS4_,@function
_Z6kernelI9histogramILN6hipcub23BlockHistogramAlgorithmE1EEyLj256ELj1ELj256ELj100EEvPKT0_PS4_: ; @_Z6kernelI9histogramILN6hipcub23BlockHistogramAlgorithmE1EEyLj256ELj1ELj256ELj100EEvPKT0_PS4_
; %bb.0:
	s_load_dwordx4 s[36:39], s[4:5], 0x0
	s_load_dword s2, s[4:5], 0x1c
	s_lshl_b32 s0, s6, 8
	v_mov_b32_e32 v7, 0
	v_or_b32_e32 v5, s0, v0
	v_mov_b32_e32 v6, v7
	v_lshlrev_b64 v[3:4], 3, v[5:6]
	s_waitcnt lgkmcnt(0)
	v_mov_b32_e32 v6, s37
	v_add_co_u32_e32 v3, vcc, s36, v3
	v_addc_co_u32_e32 v4, vcc, v6, v4, vcc
	global_load_dwordx2 v[3:4], v[3:4], off
	s_lshr_b32 s3, s2, 16
	s_and_b32 s2, s2, 0xffff
	v_mad_u32_u24 v1, v2, s3, v1
	v_mad_u64_u32 v[1:2], s[2:3], v1, s2, v[0:1]
	v_mbcnt_lo_u32_b32 v2, -1, 0
	v_mbcnt_hi_u32_b32 v2, -1, v2
	v_and_b32_e32 v8, 15, v2
	v_cmp_eq_u32_e64 s[2:3], 0, v8
	v_cmp_lt_u32_e64 s[4:5], 1, v8
	v_cmp_lt_u32_e64 s[6:7], 3, v8
	;; [unrolled: 1-line block ×3, first 2 shown]
	v_and_b32_e32 v8, 16, v2
	v_cmp_eq_u32_e64 s[10:11], 0, v8
	v_and_b32_e32 v8, 0xc0, v0
	v_or_b32_e32 v9, 63, v8
	v_cmp_eq_u32_e64 s[14:15], v0, v9
	v_subrev_co_u32_e64 v9, s[20:21], 1, v2
	v_and_b32_e32 v10, 64, v2
	v_cmp_lt_i32_e32 vcc, v9, v10
	v_cndmask_b32_e32 v9, v9, v2, vcc
	v_lshlrev_b32_e32 v6, 4, v0
	s_mov_b32 s34, 0
	v_lshlrev_b32_e32 v18, 2, v9
	v_lshrrev_b32_e32 v9, 4, v0
	v_lshlrev_b32_e32 v8, 3, v8
	v_cmp_lt_u32_e64 s[12:13], 31, v2
	v_and_b32_e32 v19, 12, v9
	v_mad_i32_i24 v20, v0, -12, v6
	v_and_b32_e32 v9, 3, v2
	v_lshl_add_u32 v22, v2, 3, v8
	v_lshlrev_b32_e32 v2, 2, v0
	s_mov_b32 s30, s34
	s_movk_i32 s0, 0x100
	v_cmp_eq_u32_e64 s[26:27], 0, v9
	v_cmp_lt_u32_e64 s[28:29], 1, v9
	v_add_u32_e32 v23, v20, v2
	v_mov_b32_e32 v8, 0x1800
	v_sub_u32_e32 v2, 0, v2
	v_lshrrev_b32_e32 v1, 4, v1
	s_mov_b32 s35, s34
	s_mov_b32 s31, s34
	v_mov_b32_e32 v9, s34
	v_mov_b32_e32 v11, s30
	v_cmp_gt_u32_e64 s[0:1], s0, v0
	v_cmp_gt_u32_e64 s[16:17], 4, v0
	v_cmp_lt_u32_e64 s[18:19], 63, v0
	v_cmp_eq_u32_e64 s[22:23], 0, v0
	v_cmp_ne_u32_e64 s[24:25], 0, v0
	v_add_u32_e32 v21, -4, v19
	v_lshl_or_b32 v17, v0, 3, v8
	v_add_u32_e32 v24, -8, v23
	v_and_b32_e32 v25, 0xffffffc, v1
	v_mov_b32_e32 v10, s35
	v_mov_b32_e32 v12, s31
	;; [unrolled: 1-line block ×3, first 2 shown]
	v_add_u32_e32 v27, v23, v2
	s_branch .LBB48_2
.LBB48_1:                               ;   in Loop: Header=BB48_2 Depth=1
	s_or_b64 exec, exec, s[30:31]
	s_add_i32 s34, s34, 1
	s_cmpk_eq_i32 s34, 0x64
	s_cbranch_scc1 .LBB48_25
.LBB48_2:                               ; =>This Loop Header: Depth=1
                                        ;     Child Loop BB48_6 Depth 2
	s_and_saveexec_b64 s[30:31], s[0:1]
; %bb.3:                                ;   in Loop: Header=BB48_2 Depth=1
	v_mov_b32_e32 v8, v7
	ds_write_b64 v17, v[7:8]
; %bb.4:                                ;   in Loop: Header=BB48_2 Depth=1
	s_or_b64 exec, exec, s[30:31]
	v_mov_b32_e32 v13, 0
	v_mov_b32_e32 v14, 0
	s_waitcnt vmcnt(0) lgkmcnt(0)
	s_barrier
	s_branch .LBB48_6
.LBB48_5:                               ;   in Loop: Header=BB48_6 Depth=2
	s_andn2_b64 vcc, exec, s[30:31]
	s_cbranch_vccz .LBB48_16
.LBB48_6:                               ;   Parent Loop BB48_2 Depth=1
                                        ; =>  This Inner Loop Header: Depth=2
	v_mov_b32_e32 v16, v4
	v_mov_b32_e32 v15, v3
	v_lshrrev_b64 v[1:2], v13, v[15:16]
	v_lshlrev_b32_e32 v2, 4, v1
	v_and_b32_e32 v2, 0xff0, v2
	v_add_u32_e32 v28, v25, v2
	v_and_b32_e32 v2, 1, v1
	v_add_co_u32_e32 v3, vcc, -1, v2
	v_addc_co_u32_e64 v4, s[30:31], 0, -1, vcc
	v_cmp_ne_u32_e32 vcc, 0, v2
	v_lshlrev_b32_e32 v8, 30, v1
	v_xor_b32_e32 v2, vcc_hi, v4
	v_xor_b32_e32 v3, vcc_lo, v3
	v_cmp_gt_i64_e32 vcc, 0, v[7:8]
	v_not_b32_e32 v4, v8
	v_ashrrev_i32_e32 v4, 31, v4
	v_and_b32_e32 v2, exec_hi, v2
	v_xor_b32_e32 v8, vcc_hi, v4
	v_and_b32_e32 v3, exec_lo, v3
	v_xor_b32_e32 v4, vcc_lo, v4
	v_and_b32_e32 v2, v2, v8
	v_lshlrev_b32_e32 v8, 29, v1
	v_and_b32_e32 v3, v3, v4
	v_cmp_gt_i64_e32 vcc, 0, v[7:8]
	v_not_b32_e32 v4, v8
	v_ashrrev_i32_e32 v4, 31, v4
	v_xor_b32_e32 v8, vcc_hi, v4
	v_xor_b32_e32 v4, vcc_lo, v4
	v_and_b32_e32 v2, v2, v8
	v_lshlrev_b32_e32 v8, 28, v1
	v_and_b32_e32 v3, v3, v4
	v_cmp_gt_i64_e32 vcc, 0, v[7:8]
	v_not_b32_e32 v4, v8
	v_ashrrev_i32_e32 v4, 31, v4
	v_xor_b32_e32 v8, vcc_hi, v4
	;; [unrolled: 8-line block ×5, first 2 shown]
	v_and_b32_e32 v2, v2, v8
	v_lshlrev_b32_e32 v8, 24, v1
	v_xor_b32_e32 v4, vcc_lo, v4
	v_cmp_gt_i64_e32 vcc, 0, v[7:8]
	v_not_b32_e32 v1, v8
	v_ashrrev_i32_e32 v1, 31, v1
	v_and_b32_e32 v3, v3, v4
	v_xor_b32_e32 v4, vcc_hi, v1
	v_xor_b32_e32 v1, vcc_lo, v1
	v_and_b32_e32 v1, v3, v1
	v_and_b32_e32 v2, v2, v4
	v_mbcnt_lo_u32_b32 v3, v1, 0
	v_mbcnt_hi_u32_b32 v8, v2, v3
	v_cmp_ne_u64_e32 vcc, 0, v[1:2]
	v_cmp_eq_u32_e64 s[30:31], 0, v8
	s_and_b64 s[36:37], vcc, s[30:31]
	ds_write2_b64 v6, v[9:10], v[11:12] offset0:2 offset1:3
	s_waitcnt lgkmcnt(0)
	s_barrier
	; wave barrier
	s_and_saveexec_b64 s[30:31], s[36:37]
; %bb.7:                                ;   in Loop: Header=BB48_6 Depth=2
	v_bcnt_u32_b32 v1, v1, 0
	v_bcnt_u32_b32 v1, v2, v1
	ds_write_b32 v28, v1 offset:16
; %bb.8:                                ;   in Loop: Header=BB48_6 Depth=2
	s_or_b64 exec, exec, s[30:31]
	; wave barrier
	s_waitcnt lgkmcnt(0)
	s_barrier
	ds_read2_b64 v[1:4], v6 offset0:2 offset1:3
	s_waitcnt lgkmcnt(0)
	v_add_u32_e32 v29, v2, v1
	v_add3_u32 v4, v29, v3, v4
	s_nop 1
	v_mov_b32_dpp v29, v4 row_shr:1 row_mask:0xf bank_mask:0xf
	v_cndmask_b32_e64 v29, v29, 0, s[2:3]
	v_add_u32_e32 v4, v29, v4
	s_nop 1
	v_mov_b32_dpp v29, v4 row_shr:2 row_mask:0xf bank_mask:0xf
	v_cndmask_b32_e64 v29, 0, v29, s[4:5]
	v_add_u32_e32 v4, v4, v29
	;; [unrolled: 4-line block ×4, first 2 shown]
	s_nop 1
	v_mov_b32_dpp v29, v4 row_bcast:15 row_mask:0xf bank_mask:0xf
	v_cndmask_b32_e64 v29, v29, 0, s[10:11]
	v_add_u32_e32 v4, v4, v29
	s_nop 1
	v_mov_b32_dpp v29, v4 row_bcast:31 row_mask:0xf bank_mask:0xf
	v_cndmask_b32_e64 v29, 0, v29, s[12:13]
	v_add_u32_e32 v4, v4, v29
	s_and_saveexec_b64 s[30:31], s[14:15]
; %bb.9:                                ;   in Loop: Header=BB48_6 Depth=2
	ds_write_b32 v19, v4
; %bb.10:                               ;   in Loop: Header=BB48_6 Depth=2
	s_or_b64 exec, exec, s[30:31]
	s_waitcnt lgkmcnt(0)
	s_barrier
	s_and_saveexec_b64 s[30:31], s[16:17]
	s_cbranch_execz .LBB48_12
; %bb.11:                               ;   in Loop: Header=BB48_6 Depth=2
	ds_read_b32 v29, v20
	s_waitcnt lgkmcnt(0)
	s_nop 0
	v_mov_b32_dpp v30, v29 row_shr:1 row_mask:0xf bank_mask:0xf
	v_cndmask_b32_e64 v30, v30, 0, s[26:27]
	v_add_u32_e32 v29, v30, v29
	s_nop 1
	v_mov_b32_dpp v30, v29 row_shr:2 row_mask:0xf bank_mask:0xf
	v_cndmask_b32_e64 v30, 0, v30, s[28:29]
	v_add_u32_e32 v29, v29, v30
	ds_write_b32 v20, v29
.LBB48_12:                              ;   in Loop: Header=BB48_6 Depth=2
	s_or_b64 exec, exec, s[30:31]
	v_mov_b32_e32 v29, 0
	s_waitcnt lgkmcnt(0)
	s_barrier
	s_and_saveexec_b64 s[30:31], s[18:19]
; %bb.13:                               ;   in Loop: Header=BB48_6 Depth=2
	ds_read_b32 v29, v21
; %bb.14:                               ;   in Loop: Header=BB48_6 Depth=2
	s_or_b64 exec, exec, s[30:31]
	s_waitcnt lgkmcnt(0)
	v_add_u32_e32 v4, v29, v4
	ds_bpermute_b32 v4, v18, v4
	v_cmp_lt_u32_e32 vcc, 55, v13
	s_and_b64 vcc, exec, vcc
	s_mov_b64 s[30:31], -1
	s_waitcnt lgkmcnt(0)
	v_cndmask_b32_e64 v4, v4, v29, s[20:21]
	v_cndmask_b32_e64 v29, v4, 0, s[22:23]
	v_add_u32_e32 v30, v29, v1
	v_add_u32_e32 v1, v30, v2
	;; [unrolled: 1-line block ×3, first 2 shown]
	ds_write2_b64 v6, v[29:30], v[1:2] offset0:2 offset1:3
	s_waitcnt lgkmcnt(0)
	s_barrier
	ds_read_b32 v1, v28 offset:16
                                        ; implicit-def: $vgpr3_vgpr4
	s_waitcnt lgkmcnt(0)
	v_add_u32_e32 v1, v1, v8
	s_cbranch_vccnz .LBB48_5
; %bb.15:                               ;   in Loop: Header=BB48_6 Depth=2
	v_lshlrev_b32_e32 v2, 3, v1
	s_barrier
	ds_write_b64 v2, v[15:16]
	s_waitcnt lgkmcnt(0)
	s_barrier
	ds_read_b64 v[3:4], v22
	v_add_co_u32_e32 v13, vcc, 8, v13
	v_addc_co_u32_e32 v14, vcc, 0, v14, vcc
	s_mov_b64 s[30:31], 0
	s_waitcnt lgkmcnt(0)
	s_barrier
	s_branch .LBB48_5
.LBB48_16:                              ;   in Loop: Header=BB48_2 Depth=1
	v_lshlrev_b32_e32 v1, 3, v1
	s_barrier
	ds_write_b64 v1, v[15:16]
	s_waitcnt lgkmcnt(0)
	s_barrier
	ds_read_b64 v[3:4], v23
	s_waitcnt lgkmcnt(0)
	s_barrier
	s_and_saveexec_b64 s[30:31], s[0:1]
; %bb.17:                               ;   in Loop: Header=BB48_2 Depth=1
	ds_write2st64_b32 v27, v26, v26 offset0:16 offset1:20
; %bb.18:                               ;   in Loop: Header=BB48_2 Depth=1
	s_or_b64 exec, exec, s[30:31]
	s_waitcnt lgkmcnt(0)
	s_barrier
	ds_write_b64 v23, v[3:4]
	s_waitcnt lgkmcnt(0)
	s_barrier
	s_and_saveexec_b64 s[30:31], s[24:25]
	s_cbranch_execz .LBB48_21
; %bb.19:                               ;   in Loop: Header=BB48_2 Depth=1
	ds_read_b32 v1, v24
	s_waitcnt lgkmcnt(0)
	v_cmp_ne_u32_e32 vcc, v1, v3
	s_and_b64 exec, exec, vcc
	s_cbranch_execz .LBB48_21
; %bb.20:                               ;   in Loop: Header=BB48_2 Depth=1
	v_lshlrev_b32_e32 v1, 2, v3
	ds_write_b32 v1, v0 offset:4096
	ds_read_b32 v1, v24
	s_waitcnt lgkmcnt(0)
	v_lshlrev_b32_e32 v1, 2, v1
	ds_write_b32 v1, v0 offset:5120
.LBB48_21:                              ;   in Loop: Header=BB48_2 Depth=1
	s_or_b64 exec, exec, s[30:31]
	s_waitcnt lgkmcnt(0)
	s_barrier
	s_and_saveexec_b64 s[30:31], s[22:23]
; %bb.22:                               ;   in Loop: Header=BB48_2 Depth=1
	v_lshlrev_b32_e32 v1, 2, v3
	ds_write_b32 v1, v7 offset:4096
; %bb.23:                               ;   in Loop: Header=BB48_2 Depth=1
	s_or_b64 exec, exec, s[30:31]
	s_waitcnt lgkmcnt(0)
	s_barrier
	s_and_saveexec_b64 s[30:31], s[0:1]
	s_cbranch_execz .LBB48_1
; %bb.24:                               ;   in Loop: Header=BB48_2 Depth=1
	ds_read2st64_b32 v[1:2], v27 offset0:16 offset1:20
	ds_read_b64 v[13:14], v17
	s_waitcnt lgkmcnt(1)
	v_sub_u32_e32 v1, v2, v1
	s_waitcnt lgkmcnt(0)
	v_add_co_u32_e32 v1, vcc, v13, v1
	v_addc_co_u32_e32 v2, vcc, 0, v14, vcc
	ds_write_b64 v17, v[1:2]
	s_branch .LBB48_1
.LBB48_25:
	s_and_saveexec_b64 s[2:3], s[0:1]
	s_cbranch_execz .LBB48_27
; %bb.26:
	v_mov_b32_e32 v6, 0
	ds_read_b64 v[2:3], v17
	v_lshlrev_b64 v[0:1], 3, v[5:6]
	v_mov_b32_e32 v4, s39
	v_add_co_u32_e32 v0, vcc, s38, v0
	v_addc_co_u32_e32 v1, vcc, v4, v1, vcc
	s_waitcnt lgkmcnt(0)
	global_store_dwordx2 v[0:1], v[2:3], off
.LBB48_27:
	s_endpgm
	.section	.rodata,"a",@progbits
	.p2align	6, 0x0
	.amdhsa_kernel _Z6kernelI9histogramILN6hipcub23BlockHistogramAlgorithmE1EEyLj256ELj1ELj256ELj100EEvPKT0_PS4_
		.amdhsa_group_segment_fixed_size 8192
		.amdhsa_private_segment_fixed_size 0
		.amdhsa_kernarg_size 272
		.amdhsa_user_sgpr_count 6
		.amdhsa_user_sgpr_private_segment_buffer 1
		.amdhsa_user_sgpr_dispatch_ptr 0
		.amdhsa_user_sgpr_queue_ptr 0
		.amdhsa_user_sgpr_kernarg_segment_ptr 1
		.amdhsa_user_sgpr_dispatch_id 0
		.amdhsa_user_sgpr_flat_scratch_init 0
		.amdhsa_user_sgpr_private_segment_size 0
		.amdhsa_uses_dynamic_stack 0
		.amdhsa_system_sgpr_private_segment_wavefront_offset 0
		.amdhsa_system_sgpr_workgroup_id_x 1
		.amdhsa_system_sgpr_workgroup_id_y 0
		.amdhsa_system_sgpr_workgroup_id_z 0
		.amdhsa_system_sgpr_workgroup_info 0
		.amdhsa_system_vgpr_workitem_id 2
		.amdhsa_next_free_vgpr 31
		.amdhsa_next_free_sgpr 61
		.amdhsa_reserve_vcc 1
		.amdhsa_reserve_flat_scratch 0
		.amdhsa_float_round_mode_32 0
		.amdhsa_float_round_mode_16_64 0
		.amdhsa_float_denorm_mode_32 3
		.amdhsa_float_denorm_mode_16_64 3
		.amdhsa_dx10_clamp 1
		.amdhsa_ieee_mode 1
		.amdhsa_fp16_overflow 0
		.amdhsa_exception_fp_ieee_invalid_op 0
		.amdhsa_exception_fp_denorm_src 0
		.amdhsa_exception_fp_ieee_div_zero 0
		.amdhsa_exception_fp_ieee_overflow 0
		.amdhsa_exception_fp_ieee_underflow 0
		.amdhsa_exception_fp_ieee_inexact 0
		.amdhsa_exception_int_div_zero 0
	.end_amdhsa_kernel
	.section	.text._Z6kernelI9histogramILN6hipcub23BlockHistogramAlgorithmE1EEyLj256ELj1ELj256ELj100EEvPKT0_PS4_,"axG",@progbits,_Z6kernelI9histogramILN6hipcub23BlockHistogramAlgorithmE1EEyLj256ELj1ELj256ELj100EEvPKT0_PS4_,comdat
.Lfunc_end48:
	.size	_Z6kernelI9histogramILN6hipcub23BlockHistogramAlgorithmE1EEyLj256ELj1ELj256ELj100EEvPKT0_PS4_, .Lfunc_end48-_Z6kernelI9histogramILN6hipcub23BlockHistogramAlgorithmE1EEyLj256ELj1ELj256ELj100EEvPKT0_PS4_
                                        ; -- End function
	.set _Z6kernelI9histogramILN6hipcub23BlockHistogramAlgorithmE1EEyLj256ELj1ELj256ELj100EEvPKT0_PS4_.num_vgpr, 31
	.set _Z6kernelI9histogramILN6hipcub23BlockHistogramAlgorithmE1EEyLj256ELj1ELj256ELj100EEvPKT0_PS4_.num_agpr, 0
	.set _Z6kernelI9histogramILN6hipcub23BlockHistogramAlgorithmE1EEyLj256ELj1ELj256ELj100EEvPKT0_PS4_.numbered_sgpr, 40
	.set _Z6kernelI9histogramILN6hipcub23BlockHistogramAlgorithmE1EEyLj256ELj1ELj256ELj100EEvPKT0_PS4_.num_named_barrier, 0
	.set _Z6kernelI9histogramILN6hipcub23BlockHistogramAlgorithmE1EEyLj256ELj1ELj256ELj100EEvPKT0_PS4_.private_seg_size, 0
	.set _Z6kernelI9histogramILN6hipcub23BlockHistogramAlgorithmE1EEyLj256ELj1ELj256ELj100EEvPKT0_PS4_.uses_vcc, 1
	.set _Z6kernelI9histogramILN6hipcub23BlockHistogramAlgorithmE1EEyLj256ELj1ELj256ELj100EEvPKT0_PS4_.uses_flat_scratch, 0
	.set _Z6kernelI9histogramILN6hipcub23BlockHistogramAlgorithmE1EEyLj256ELj1ELj256ELj100EEvPKT0_PS4_.has_dyn_sized_stack, 0
	.set _Z6kernelI9histogramILN6hipcub23BlockHistogramAlgorithmE1EEyLj256ELj1ELj256ELj100EEvPKT0_PS4_.has_recursion, 0
	.set _Z6kernelI9histogramILN6hipcub23BlockHistogramAlgorithmE1EEyLj256ELj1ELj256ELj100EEvPKT0_PS4_.has_indirect_call, 0
	.section	.AMDGPU.csdata,"",@progbits
; Kernel info:
; codeLenInByte = 1596
; TotalNumSgprs: 44
; NumVgprs: 31
; ScratchSize: 0
; MemoryBound: 0
; FloatMode: 240
; IeeeMode: 1
; LDSByteSize: 8192 bytes/workgroup (compile time only)
; SGPRBlocks: 8
; VGPRBlocks: 7
; NumSGPRsForWavesPerEU: 65
; NumVGPRsForWavesPerEU: 31
; Occupancy: 8
; WaveLimiterHint : 0
; COMPUTE_PGM_RSRC2:SCRATCH_EN: 0
; COMPUTE_PGM_RSRC2:USER_SGPR: 6
; COMPUTE_PGM_RSRC2:TRAP_HANDLER: 0
; COMPUTE_PGM_RSRC2:TGID_X_EN: 1
; COMPUTE_PGM_RSRC2:TGID_Y_EN: 0
; COMPUTE_PGM_RSRC2:TGID_Z_EN: 0
; COMPUTE_PGM_RSRC2:TIDIG_COMP_CNT: 2
	.section	.text._Z6kernelI9histogramILN6hipcub23BlockHistogramAlgorithmE1EEyLj256ELj2ELj256ELj100EEvPKT0_PS4_,"axG",@progbits,_Z6kernelI9histogramILN6hipcub23BlockHistogramAlgorithmE1EEyLj256ELj2ELj256ELj100EEvPKT0_PS4_,comdat
	.protected	_Z6kernelI9histogramILN6hipcub23BlockHistogramAlgorithmE1EEyLj256ELj2ELj256ELj100EEvPKT0_PS4_ ; -- Begin function _Z6kernelI9histogramILN6hipcub23BlockHistogramAlgorithmE1EEyLj256ELj2ELj256ELj100EEvPKT0_PS4_
	.globl	_Z6kernelI9histogramILN6hipcub23BlockHistogramAlgorithmE1EEyLj256ELj2ELj256ELj100EEvPKT0_PS4_
	.p2align	8
	.type	_Z6kernelI9histogramILN6hipcub23BlockHistogramAlgorithmE1EEyLj256ELj2ELj256ELj100EEvPKT0_PS4_,@function
_Z6kernelI9histogramILN6hipcub23BlockHistogramAlgorithmE1EEyLj256ELj2ELj256ELj100EEvPKT0_PS4_: ; @_Z6kernelI9histogramILN6hipcub23BlockHistogramAlgorithmE1EEyLj256ELj2ELj256ELj100EEvPKT0_PS4_
; %bb.0:
	s_load_dwordx4 s[36:39], s[4:5], 0x0
	s_load_dword s7, s[4:5], 0x1c
	v_lshlrev_b32_e32 v17, 1, v0
	v_mov_b32_e32 v7, 0
	v_lshl_or_b32 v3, s6, 9, v17
	v_mov_b32_e32 v4, v7
	v_lshlrev_b64 v[3:4], 3, v[3:4]
	s_waitcnt lgkmcnt(0)
	v_mov_b32_e32 v5, s37
	v_add_co_u32_e32 v3, vcc, s36, v3
	v_addc_co_u32_e32 v4, vcc, v5, v4, vcc
	global_load_dwordx4 v[3:6], v[3:4], off
	s_lshr_b32 s4, s7, 16
	v_mbcnt_lo_u32_b32 v8, -1, 0
	s_and_b32 s5, s7, 0xffff
	v_mad_u32_u24 v1, v2, s4, v1
	v_mbcnt_hi_u32_b32 v8, -1, v8
	v_mad_u64_u32 v[1:2], s[4:5], v1, s5, v[0:1]
	v_and_b32_e32 v2, 15, v8
	v_cmp_eq_u32_e64 s[4:5], 0, v2
	v_cmp_lt_u32_e64 s[34:35], 1, v2
	v_cmp_lt_u32_e64 s[8:9], 3, v2
	;; [unrolled: 1-line block ×3, first 2 shown]
	v_and_b32_e32 v2, 16, v8
	v_and_b32_e32 v10, 1, v8
	v_cmp_eq_u32_e64 s[12:13], 0, v2
	v_or_b32_e32 v2, 63, v0
	v_cmp_eq_u32_e64 s[2:3], 0, v10
	v_and_b32_e32 v10, 64, v8
	v_cmp_eq_u32_e64 s[16:17], v0, v2
	v_subrev_co_u32_e64 v2, s[22:23], 1, v8
	v_cmp_lt_i32_e32 vcc, v2, v10
	v_cndmask_b32_e32 v2, v2, v8, vcc
	v_lshlrev_b32_e32 v22, 2, v2
	v_lshrrev_b32_e32 v2, 4, v0
	v_lshlrev_b32_e32 v20, 4, v0
	v_and_b32_e32 v23, 12, v2
	v_and_b32_e32 v2, 3, v8
	v_mad_i32_i24 v24, v0, -12, v20
	v_cmp_eq_u32_e64 s[28:29], 0, v2
	v_cmp_lt_u32_e64 s[30:31], 1, v2
	v_and_b32_e32 v2, 0xc00, v20
	s_mov_b32 s40, 0
	v_lshrrev_b32_e32 v9, 1, v8
	v_lshl_or_b32 v25, v8, 3, v2
	v_mad_u32_u24 v26, v0, 12, v24
	v_lshlrev_b32_e32 v2, 3, v0
	v_or_b32_e32 v9, v9, v10
	v_sub_u32_e32 v27, v26, v2
	v_or_b32_e32 v21, 0x1800, v2
	v_lshlrev_b32_e32 v2, 2, v0
	s_mov_b32 s36, s40
	s_movk_i32 s0, 0x100
	v_lshlrev_b32_e32 v18, 2, v9
	v_sub_u32_e32 v2, 0, v2
	v_lshrrev_b32_e32 v1, 4, v1
	s_mov_b32 s41, s40
	s_mov_b32 s37, s40
	v_mov_b32_e32 v9, s40
	v_mov_b32_e32 v11, s36
	v_cmp_gt_u32_e64 s[0:1], s0, v0
	v_xor_b32_e32 v19, 0x80, v18
	v_cmp_lt_u32_e64 s[14:15], 31, v8
	v_cmp_gt_u32_e64 s[18:19], 4, v0
	v_cmp_lt_u32_e64 s[20:21], 63, v0
	v_cmp_eq_u32_e64 s[24:25], 0, v0
	v_cmp_ne_u32_e64 s[26:27], 0, v0
	v_or_b32_e32 v28, 1, v17
	v_add_u32_e32 v29, -8, v27
	v_and_b32_e32 v30, 0xffffffc, v1
	v_mov_b32_e32 v10, s41
	v_mov_b32_e32 v12, s37
	v_add_u32_e32 v31, v27, v2
	v_mov_b32_e32 v32, 0x200
	s_branch .LBB49_2
.LBB49_1:                               ;   in Loop: Header=BB49_2 Depth=1
	s_or_b64 exec, exec, s[36:37]
	s_add_i32 s40, s40, 1
	s_cmpk_eq_i32 s40, 0x64
	s_cbranch_scc1 .LBB49_29
.LBB49_2:                               ; =>This Loop Header: Depth=1
                                        ;     Child Loop BB49_6 Depth 2
	s_and_saveexec_b64 s[36:37], s[0:1]
; %bb.3:                                ;   in Loop: Header=BB49_2 Depth=1
	v_mov_b32_e32 v8, v7
	ds_write_b64 v21, v[7:8]
; %bb.4:                                ;   in Loop: Header=BB49_2 Depth=1
	s_or_b64 exec, exec, s[36:37]
	s_waitcnt vmcnt(0)
	ds_bpermute_b32 v2, v18, v4
	ds_bpermute_b32 v13, v18, v6
	;; [unrolled: 1-line block ×8, first 2 shown]
	s_waitcnt lgkmcnt(6)
	v_cndmask_b32_e64 v2, v13, v2, s[2:3]
	v_mov_b32_e32 v13, 0
	s_waitcnt lgkmcnt(4)
	v_cndmask_b32_e64 v1, v8, v1, s[2:3]
	s_waitcnt lgkmcnt(1)
	v_cndmask_b32_e64 v4, v6, v4, s[2:3]
	;; [unrolled: 2-line block ×3, first 2 shown]
	v_mov_b32_e32 v14, 0
	s_barrier
	s_barrier
	s_branch .LBB49_6
.LBB49_5:                               ;   in Loop: Header=BB49_6 Depth=2
	s_andn2_b64 vcc, exec, s[36:37]
	s_cbranch_vccz .LBB49_18
.LBB49_6:                               ;   Parent Loop BB49_2 Depth=1
                                        ; =>  This Inner Loop Header: Depth=2
	v_mov_b32_e32 v16, v2
	v_mov_b32_e32 v15, v1
	v_lshrrev_b64 v[1:2], v13, v[15:16]
	v_mov_b32_e32 v6, v4
	v_lshlrev_b32_e32 v2, 4, v1
	v_and_b32_e32 v2, 0xff0, v2
	v_add_u32_e32 v33, v30, v2
	v_and_b32_e32 v2, 1, v1
	v_mov_b32_e32 v5, v3
	v_add_co_u32_e32 v3, vcc, -1, v2
	v_addc_co_u32_e64 v4, s[36:37], 0, -1, vcc
	v_cmp_ne_u32_e32 vcc, 0, v2
	v_lshlrev_b32_e32 v8, 30, v1
	v_xor_b32_e32 v2, vcc_hi, v4
	v_xor_b32_e32 v3, vcc_lo, v3
	v_cmp_gt_i64_e32 vcc, 0, v[7:8]
	v_not_b32_e32 v4, v8
	v_ashrrev_i32_e32 v4, 31, v4
	v_and_b32_e32 v2, exec_hi, v2
	v_xor_b32_e32 v8, vcc_hi, v4
	v_and_b32_e32 v3, exec_lo, v3
	v_xor_b32_e32 v4, vcc_lo, v4
	v_and_b32_e32 v2, v2, v8
	v_lshlrev_b32_e32 v8, 29, v1
	v_and_b32_e32 v3, v3, v4
	v_cmp_gt_i64_e32 vcc, 0, v[7:8]
	v_not_b32_e32 v4, v8
	v_ashrrev_i32_e32 v4, 31, v4
	v_xor_b32_e32 v8, vcc_hi, v4
	v_xor_b32_e32 v4, vcc_lo, v4
	v_and_b32_e32 v2, v2, v8
	v_lshlrev_b32_e32 v8, 28, v1
	v_and_b32_e32 v3, v3, v4
	v_cmp_gt_i64_e32 vcc, 0, v[7:8]
	v_not_b32_e32 v4, v8
	v_ashrrev_i32_e32 v4, 31, v4
	v_xor_b32_e32 v8, vcc_hi, v4
	;; [unrolled: 8-line block ×5, first 2 shown]
	v_and_b32_e32 v2, v2, v8
	v_lshlrev_b32_e32 v8, 24, v1
	v_xor_b32_e32 v4, vcc_lo, v4
	v_cmp_gt_i64_e32 vcc, 0, v[7:8]
	v_not_b32_e32 v1, v8
	v_ashrrev_i32_e32 v1, 31, v1
	v_and_b32_e32 v3, v3, v4
	v_xor_b32_e32 v4, vcc_hi, v1
	v_xor_b32_e32 v1, vcc_lo, v1
	v_and_b32_e32 v1, v3, v1
	v_and_b32_e32 v2, v2, v4
	v_mbcnt_lo_u32_b32 v3, v1, 0
	v_mbcnt_hi_u32_b32 v34, v2, v3
	v_cmp_ne_u64_e32 vcc, 0, v[1:2]
	v_cmp_eq_u32_e64 s[36:37], 0, v34
	s_and_b64 s[42:43], vcc, s[36:37]
	ds_write2_b64 v20, v[9:10], v[11:12] offset0:2 offset1:3
	s_waitcnt lgkmcnt(0)
	s_barrier
	; wave barrier
	s_and_saveexec_b64 s[36:37], s[42:43]
; %bb.7:                                ;   in Loop: Header=BB49_6 Depth=2
	v_bcnt_u32_b32 v1, v1, 0
	v_bcnt_u32_b32 v1, v2, v1
	ds_write_b32 v33, v1 offset:16
; %bb.8:                                ;   in Loop: Header=BB49_6 Depth=2
	s_or_b64 exec, exec, s[36:37]
	v_lshrrev_b64 v[1:2], v13, v[5:6]
	v_lshlrev_b32_e32 v2, 4, v1
	v_and_b32_e32 v2, 0xff0, v2
	v_add_u32_e32 v36, v30, v2
	v_and_b32_e32 v2, 1, v1
	v_add_co_u32_e32 v3, vcc, -1, v2
	v_addc_co_u32_e64 v4, s[36:37], 0, -1, vcc
	v_cmp_ne_u32_e32 vcc, 0, v2
	v_lshlrev_b32_e32 v8, 30, v1
	v_xor_b32_e32 v2, vcc_hi, v4
	v_xor_b32_e32 v3, vcc_lo, v3
	v_cmp_gt_i64_e32 vcc, 0, v[7:8]
	v_not_b32_e32 v4, v8
	v_ashrrev_i32_e32 v4, 31, v4
	v_and_b32_e32 v2, exec_hi, v2
	v_xor_b32_e32 v8, vcc_hi, v4
	v_and_b32_e32 v3, exec_lo, v3
	v_xor_b32_e32 v4, vcc_lo, v4
	v_and_b32_e32 v2, v2, v8
	v_lshlrev_b32_e32 v8, 29, v1
	v_and_b32_e32 v3, v3, v4
	v_cmp_gt_i64_e32 vcc, 0, v[7:8]
	v_not_b32_e32 v4, v8
	v_ashrrev_i32_e32 v4, 31, v4
	v_xor_b32_e32 v8, vcc_hi, v4
	v_xor_b32_e32 v4, vcc_lo, v4
	v_and_b32_e32 v2, v2, v8
	v_lshlrev_b32_e32 v8, 28, v1
	v_and_b32_e32 v3, v3, v4
	v_cmp_gt_i64_e32 vcc, 0, v[7:8]
	v_not_b32_e32 v4, v8
	v_ashrrev_i32_e32 v4, 31, v4
	v_xor_b32_e32 v8, vcc_hi, v4
	;; [unrolled: 8-line block ×5, first 2 shown]
	v_and_b32_e32 v2, v2, v8
	v_lshlrev_b32_e32 v8, 24, v1
	v_xor_b32_e32 v4, vcc_lo, v4
	v_cmp_gt_i64_e32 vcc, 0, v[7:8]
	v_not_b32_e32 v1, v8
	v_ashrrev_i32_e32 v1, 31, v1
	v_and_b32_e32 v3, v3, v4
	v_xor_b32_e32 v4, vcc_hi, v1
	v_xor_b32_e32 v1, vcc_lo, v1
	; wave barrier
	ds_read_b32 v35, v36 offset:16
	v_and_b32_e32 v1, v3, v1
	v_and_b32_e32 v2, v2, v4
	v_mbcnt_lo_u32_b32 v3, v1, 0
	v_mbcnt_hi_u32_b32 v8, v2, v3
	v_cmp_ne_u64_e32 vcc, 0, v[1:2]
	v_cmp_eq_u32_e64 s[36:37], 0, v8
	s_and_b64 s[42:43], vcc, s[36:37]
	; wave barrier
	s_and_saveexec_b64 s[36:37], s[42:43]
	s_cbranch_execz .LBB49_10
; %bb.9:                                ;   in Loop: Header=BB49_6 Depth=2
	v_bcnt_u32_b32 v1, v1, 0
	v_bcnt_u32_b32 v1, v2, v1
	s_waitcnt lgkmcnt(0)
	v_add_u32_e32 v1, v35, v1
	ds_write_b32 v36, v1 offset:16
.LBB49_10:                              ;   in Loop: Header=BB49_6 Depth=2
	s_or_b64 exec, exec, s[36:37]
	; wave barrier
	s_waitcnt lgkmcnt(0)
	s_barrier
	ds_read2_b64 v[1:4], v20 offset0:2 offset1:3
	s_waitcnt lgkmcnt(0)
	v_add_u32_e32 v37, v2, v1
	v_add3_u32 v4, v37, v3, v4
	s_nop 1
	v_mov_b32_dpp v37, v4 row_shr:1 row_mask:0xf bank_mask:0xf
	v_cndmask_b32_e64 v37, v37, 0, s[4:5]
	v_add_u32_e32 v4, v37, v4
	s_nop 1
	v_mov_b32_dpp v37, v4 row_shr:2 row_mask:0xf bank_mask:0xf
	v_cndmask_b32_e64 v37, 0, v37, s[34:35]
	v_add_u32_e32 v4, v4, v37
	;; [unrolled: 4-line block ×4, first 2 shown]
	s_nop 1
	v_mov_b32_dpp v37, v4 row_bcast:15 row_mask:0xf bank_mask:0xf
	v_cndmask_b32_e64 v37, v37, 0, s[12:13]
	v_add_u32_e32 v4, v4, v37
	s_nop 1
	v_mov_b32_dpp v37, v4 row_bcast:31 row_mask:0xf bank_mask:0xf
	v_cndmask_b32_e64 v37, 0, v37, s[14:15]
	v_add_u32_e32 v4, v4, v37
	s_and_saveexec_b64 s[36:37], s[16:17]
; %bb.11:                               ;   in Loop: Header=BB49_6 Depth=2
	ds_write_b32 v23, v4
; %bb.12:                               ;   in Loop: Header=BB49_6 Depth=2
	s_or_b64 exec, exec, s[36:37]
	s_waitcnt lgkmcnt(0)
	s_barrier
	s_and_saveexec_b64 s[36:37], s[18:19]
	s_cbranch_execz .LBB49_14
; %bb.13:                               ;   in Loop: Header=BB49_6 Depth=2
	ds_read_b32 v37, v24
	s_waitcnt lgkmcnt(0)
	s_nop 0
	v_mov_b32_dpp v38, v37 row_shr:1 row_mask:0xf bank_mask:0xf
	v_cndmask_b32_e64 v38, v38, 0, s[28:29]
	v_add_u32_e32 v37, v38, v37
	s_nop 1
	v_mov_b32_dpp v38, v37 row_shr:2 row_mask:0xf bank_mask:0xf
	v_cndmask_b32_e64 v38, 0, v38, s[30:31]
	v_add_u32_e32 v37, v37, v38
	ds_write_b32 v24, v37
.LBB49_14:                              ;   in Loop: Header=BB49_6 Depth=2
	s_or_b64 exec, exec, s[36:37]
	v_mov_b32_e32 v37, 0
	s_waitcnt lgkmcnt(0)
	s_barrier
	s_and_saveexec_b64 s[36:37], s[20:21]
; %bb.15:                               ;   in Loop: Header=BB49_6 Depth=2
	v_add_u32_e32 v37, -4, v23
	ds_read_b32 v37, v37
; %bb.16:                               ;   in Loop: Header=BB49_6 Depth=2
	s_or_b64 exec, exec, s[36:37]
	s_waitcnt lgkmcnt(0)
	v_add_u32_e32 v4, v37, v4
	ds_bpermute_b32 v4, v22, v4
	v_cmp_lt_u32_e32 vcc, 55, v13
	s_and_b64 vcc, exec, vcc
	s_mov_b64 s[36:37], -1
	s_waitcnt lgkmcnt(0)
	v_cndmask_b32_e64 v4, v4, v37, s[22:23]
	v_cndmask_b32_e64 v37, v4, 0, s[24:25]
	v_add_u32_e32 v38, v37, v1
	v_add_u32_e32 v1, v38, v2
	;; [unrolled: 1-line block ×3, first 2 shown]
	ds_write2_b64 v20, v[37:38], v[1:2] offset0:2 offset1:3
	s_waitcnt lgkmcnt(0)
	s_barrier
	ds_read_b32 v1, v33 offset:16
	ds_read_b32 v2, v36 offset:16
	s_waitcnt lgkmcnt(1)
	v_add_u32_e32 v33, v1, v34
	s_waitcnt lgkmcnt(0)
	v_add3_u32 v8, v8, v35, v2
                                        ; implicit-def: $vgpr1_vgpr2
	s_cbranch_vccnz .LBB49_5
; %bb.17:                               ;   in Loop: Header=BB49_6 Depth=2
	v_lshlrev_b32_e32 v1, 3, v33
	s_barrier
	ds_write_b64 v1, v[15:16]
	v_lshlrev_b32_e32 v1, 3, v8
	ds_write_b64 v1, v[5:6]
	s_waitcnt lgkmcnt(0)
	s_barrier
	ds_read2st64_b64 v[1:4], v25 offset1:1
	v_add_co_u32_e32 v13, vcc, 8, v13
	v_addc_co_u32_e32 v14, vcc, 0, v14, vcc
	s_mov_b64 s[36:37], 0
	s_waitcnt lgkmcnt(0)
	s_barrier
	s_branch .LBB49_5
.LBB49_18:                              ;   in Loop: Header=BB49_2 Depth=1
	v_lshlrev_b32_e32 v1, 3, v33
	s_barrier
	ds_write_b64 v1, v[15:16]
	v_lshlrev_b32_e32 v1, 3, v8
	ds_write_b64 v1, v[5:6]
	s_waitcnt lgkmcnt(0)
	s_barrier
	ds_read2_b64 v[3:6], v26 offset1:1
	s_waitcnt lgkmcnt(0)
	s_barrier
	s_and_saveexec_b64 s[36:37], s[0:1]
; %bb.19:                               ;   in Loop: Header=BB49_2 Depth=1
	ds_write2st64_b32 v31, v32, v32 offset0:16 offset1:20
; %bb.20:                               ;   in Loop: Header=BB49_2 Depth=1
	s_or_b64 exec, exec, s[36:37]
	v_cmp_ne_u32_e32 vcc, v3, v5
	v_lshlrev_b32_e32 v1, 2, v3
	s_waitcnt lgkmcnt(0)
	s_barrier
	ds_write_b64 v27, v[5:6]
	s_and_saveexec_b64 s[36:37], vcc
	s_cbranch_execz .LBB49_22
; %bb.21:                               ;   in Loop: Header=BB49_2 Depth=1
	v_lshlrev_b32_e32 v2, 2, v5
	ds_write_b32 v2, v28 offset:4096
	ds_write_b32 v1, v28 offset:5120
.LBB49_22:                              ;   in Loop: Header=BB49_2 Depth=1
	s_or_b64 exec, exec, s[36:37]
	s_waitcnt lgkmcnt(0)
	s_barrier
	s_and_saveexec_b64 s[36:37], s[26:27]
	s_cbranch_execz .LBB49_25
; %bb.23:                               ;   in Loop: Header=BB49_2 Depth=1
	ds_read_b32 v2, v29
	s_waitcnt lgkmcnt(0)
	v_cmp_ne_u32_e32 vcc, v2, v3
	s_and_b64 exec, exec, vcc
	s_cbranch_execz .LBB49_25
; %bb.24:                               ;   in Loop: Header=BB49_2 Depth=1
	ds_write_b32 v1, v17 offset:4096
	ds_read_b32 v2, v29
	s_waitcnt lgkmcnt(0)
	v_lshlrev_b32_e32 v2, 2, v2
	ds_write_b32 v2, v17 offset:5120
.LBB49_25:                              ;   in Loop: Header=BB49_2 Depth=1
	s_or_b64 exec, exec, s[36:37]
	s_waitcnt lgkmcnt(0)
	s_barrier
	s_and_saveexec_b64 s[36:37], s[24:25]
; %bb.26:                               ;   in Loop: Header=BB49_2 Depth=1
	ds_write_b32 v1, v7 offset:4096
; %bb.27:                               ;   in Loop: Header=BB49_2 Depth=1
	s_or_b64 exec, exec, s[36:37]
	s_waitcnt lgkmcnt(0)
	s_barrier
	s_and_saveexec_b64 s[36:37], s[0:1]
	s_cbranch_execz .LBB49_1
; %bb.28:                               ;   in Loop: Header=BB49_2 Depth=1
	ds_read2st64_b32 v[1:2], v31 offset0:16 offset1:20
	ds_read_b64 v[13:14], v21
	s_waitcnt lgkmcnt(1)
	v_sub_u32_e32 v1, v2, v1
	s_waitcnt lgkmcnt(0)
	v_add_co_u32_e32 v1, vcc, v13, v1
	v_addc_co_u32_e32 v2, vcc, 0, v14, vcc
	ds_write_b64 v21, v[1:2]
	s_branch .LBB49_1
.LBB49_29:
	s_and_saveexec_b64 s[2:3], s[0:1]
	s_cbranch_execz .LBB49_31
; %bb.30:
	v_lshl_or_b32 v0, s6, 8, v0
	v_mov_b32_e32 v1, 0
	ds_read_b64 v[2:3], v21
	v_lshlrev_b64 v[0:1], 3, v[0:1]
	v_mov_b32_e32 v4, s39
	v_add_co_u32_e32 v0, vcc, s38, v0
	v_addc_co_u32_e32 v1, vcc, v4, v1, vcc
	s_waitcnt lgkmcnt(0)
	global_store_dwordx2 v[0:1], v[2:3], off
.LBB49_31:
	s_endpgm
	.section	.rodata,"a",@progbits
	.p2align	6, 0x0
	.amdhsa_kernel _Z6kernelI9histogramILN6hipcub23BlockHistogramAlgorithmE1EEyLj256ELj2ELj256ELj100EEvPKT0_PS4_
		.amdhsa_group_segment_fixed_size 8192
		.amdhsa_private_segment_fixed_size 0
		.amdhsa_kernarg_size 272
		.amdhsa_user_sgpr_count 6
		.amdhsa_user_sgpr_private_segment_buffer 1
		.amdhsa_user_sgpr_dispatch_ptr 0
		.amdhsa_user_sgpr_queue_ptr 0
		.amdhsa_user_sgpr_kernarg_segment_ptr 1
		.amdhsa_user_sgpr_dispatch_id 0
		.amdhsa_user_sgpr_flat_scratch_init 0
		.amdhsa_user_sgpr_private_segment_size 0
		.amdhsa_uses_dynamic_stack 0
		.amdhsa_system_sgpr_private_segment_wavefront_offset 0
		.amdhsa_system_sgpr_workgroup_id_x 1
		.amdhsa_system_sgpr_workgroup_id_y 0
		.amdhsa_system_sgpr_workgroup_id_z 0
		.amdhsa_system_sgpr_workgroup_info 0
		.amdhsa_system_vgpr_workitem_id 2
		.amdhsa_next_free_vgpr 39
		.amdhsa_next_free_sgpr 61
		.amdhsa_reserve_vcc 1
		.amdhsa_reserve_flat_scratch 0
		.amdhsa_float_round_mode_32 0
		.amdhsa_float_round_mode_16_64 0
		.amdhsa_float_denorm_mode_32 3
		.amdhsa_float_denorm_mode_16_64 3
		.amdhsa_dx10_clamp 1
		.amdhsa_ieee_mode 1
		.amdhsa_fp16_overflow 0
		.amdhsa_exception_fp_ieee_invalid_op 0
		.amdhsa_exception_fp_denorm_src 0
		.amdhsa_exception_fp_ieee_div_zero 0
		.amdhsa_exception_fp_ieee_overflow 0
		.amdhsa_exception_fp_ieee_underflow 0
		.amdhsa_exception_fp_ieee_inexact 0
		.amdhsa_exception_int_div_zero 0
	.end_amdhsa_kernel
	.section	.text._Z6kernelI9histogramILN6hipcub23BlockHistogramAlgorithmE1EEyLj256ELj2ELj256ELj100EEvPKT0_PS4_,"axG",@progbits,_Z6kernelI9histogramILN6hipcub23BlockHistogramAlgorithmE1EEyLj256ELj2ELj256ELj100EEvPKT0_PS4_,comdat
.Lfunc_end49:
	.size	_Z6kernelI9histogramILN6hipcub23BlockHistogramAlgorithmE1EEyLj256ELj2ELj256ELj100EEvPKT0_PS4_, .Lfunc_end49-_Z6kernelI9histogramILN6hipcub23BlockHistogramAlgorithmE1EEyLj256ELj2ELj256ELj100EEvPKT0_PS4_
                                        ; -- End function
	.set _Z6kernelI9histogramILN6hipcub23BlockHistogramAlgorithmE1EEyLj256ELj2ELj256ELj100EEvPKT0_PS4_.num_vgpr, 39
	.set _Z6kernelI9histogramILN6hipcub23BlockHistogramAlgorithmE1EEyLj256ELj2ELj256ELj100EEvPKT0_PS4_.num_agpr, 0
	.set _Z6kernelI9histogramILN6hipcub23BlockHistogramAlgorithmE1EEyLj256ELj2ELj256ELj100EEvPKT0_PS4_.numbered_sgpr, 44
	.set _Z6kernelI9histogramILN6hipcub23BlockHistogramAlgorithmE1EEyLj256ELj2ELj256ELj100EEvPKT0_PS4_.num_named_barrier, 0
	.set _Z6kernelI9histogramILN6hipcub23BlockHistogramAlgorithmE1EEyLj256ELj2ELj256ELj100EEvPKT0_PS4_.private_seg_size, 0
	.set _Z6kernelI9histogramILN6hipcub23BlockHistogramAlgorithmE1EEyLj256ELj2ELj256ELj100EEvPKT0_PS4_.uses_vcc, 1
	.set _Z6kernelI9histogramILN6hipcub23BlockHistogramAlgorithmE1EEyLj256ELj2ELj256ELj100EEvPKT0_PS4_.uses_flat_scratch, 0
	.set _Z6kernelI9histogramILN6hipcub23BlockHistogramAlgorithmE1EEyLj256ELj2ELj256ELj100EEvPKT0_PS4_.has_dyn_sized_stack, 0
	.set _Z6kernelI9histogramILN6hipcub23BlockHistogramAlgorithmE1EEyLj256ELj2ELj256ELj100EEvPKT0_PS4_.has_recursion, 0
	.set _Z6kernelI9histogramILN6hipcub23BlockHistogramAlgorithmE1EEyLj256ELj2ELj256ELj100EEvPKT0_PS4_.has_indirect_call, 0
	.section	.AMDGPU.csdata,"",@progbits
; Kernel info:
; codeLenInByte = 2212
; TotalNumSgprs: 48
; NumVgprs: 39
; ScratchSize: 0
; MemoryBound: 0
; FloatMode: 240
; IeeeMode: 1
; LDSByteSize: 8192 bytes/workgroup (compile time only)
; SGPRBlocks: 8
; VGPRBlocks: 9
; NumSGPRsForWavesPerEU: 65
; NumVGPRsForWavesPerEU: 39
; Occupancy: 6
; WaveLimiterHint : 0
; COMPUTE_PGM_RSRC2:SCRATCH_EN: 0
; COMPUTE_PGM_RSRC2:USER_SGPR: 6
; COMPUTE_PGM_RSRC2:TRAP_HANDLER: 0
; COMPUTE_PGM_RSRC2:TGID_X_EN: 1
; COMPUTE_PGM_RSRC2:TGID_Y_EN: 0
; COMPUTE_PGM_RSRC2:TGID_Z_EN: 0
; COMPUTE_PGM_RSRC2:TIDIG_COMP_CNT: 2
	.section	.text._Z6kernelI9histogramILN6hipcub23BlockHistogramAlgorithmE1EEyLj256ELj3ELj256ELj100EEvPKT0_PS4_,"axG",@progbits,_Z6kernelI9histogramILN6hipcub23BlockHistogramAlgorithmE1EEyLj256ELj3ELj256ELj100EEvPKT0_PS4_,comdat
	.protected	_Z6kernelI9histogramILN6hipcub23BlockHistogramAlgorithmE1EEyLj256ELj3ELj256ELj100EEvPKT0_PS4_ ; -- Begin function _Z6kernelI9histogramILN6hipcub23BlockHistogramAlgorithmE1EEyLj256ELj3ELj256ELj100EEvPKT0_PS4_
	.globl	_Z6kernelI9histogramILN6hipcub23BlockHistogramAlgorithmE1EEyLj256ELj3ELj256ELj100EEvPKT0_PS4_
	.p2align	8
	.type	_Z6kernelI9histogramILN6hipcub23BlockHistogramAlgorithmE1EEyLj256ELj3ELj256ELj100EEvPKT0_PS4_,@function
_Z6kernelI9histogramILN6hipcub23BlockHistogramAlgorithmE1EEyLj256ELj3ELj256ELj100EEvPKT0_PS4_: ; @_Z6kernelI9histogramILN6hipcub23BlockHistogramAlgorithmE1EEyLj256ELj3ELj256ELj100EEvPKT0_PS4_
; %bb.0:
	s_lshl_b32 s0, s6, 8
	s_load_dwordx4 s[36:39], s[4:5], 0x0
	s_load_dword s2, s[4:5], 0x1c
	v_or_b32_e32 v7, s0, v0
	v_mov_b32_e32 v8, 0
	v_lshl_add_u32 v3, v7, 1, v7
	v_mov_b32_e32 v4, v8
	v_lshlrev_b64 v[4:5], 3, v[3:4]
	s_waitcnt lgkmcnt(0)
	v_mov_b32_e32 v6, s37
	v_add_co_u32_e32 v9, vcc, s36, v4
	v_addc_co_u32_e32 v10, vcc, v6, v5, vcc
	v_add_u32_e32 v4, 1, v3
	v_mov_b32_e32 v5, v8
	v_lshlrev_b64 v[4:5], 3, v[4:5]
	v_add_u32_e32 v3, 2, v3
	v_add_co_u32_e32 v11, vcc, s36, v4
	v_mov_b32_e32 v4, v8
	v_lshlrev_b64 v[3:4], 3, v[3:4]
	v_addc_co_u32_e32 v12, vcc, v6, v5, vcc
	v_mov_b32_e32 v5, s37
	v_add_co_u32_e32 v16, vcc, s36, v3
	v_addc_co_u32_e32 v17, vcc, v5, v4, vcc
	global_load_dwordx2 v[3:4], v[9:10], off
	global_load_dwordx2 v[5:6], v[11:12], off
	global_load_dwordx2 v[14:15], v[16:17], off
	s_lshr_b32 s3, s2, 16
	v_mbcnt_lo_u32_b32 v9, -1, 0
	s_and_b32 s2, s2, 0xffff
	v_mad_u32_u24 v1, v2, s3, v1
	v_mbcnt_hi_u32_b32 v9, -1, v9
	v_mad_u64_u32 v[1:2], s[2:3], v1, s2, v[0:1]
	v_lshrrev_b32_e32 v10, 6, v0
	v_and_b32_e32 v2, 15, v9
	v_mul_u32_u24_e32 v11, 0xc0, v10
	v_cmp_eq_u32_e64 s[2:3], 0, v2
	v_cmp_lt_u32_e64 s[4:5], 1, v2
	v_cmp_lt_u32_e64 s[6:7], 3, v2
	;; [unrolled: 1-line block ×3, first 2 shown]
	v_and_b32_e32 v2, 16, v9
	v_lshlrev_b32_e32 v11, 3, v11
	v_lshlrev_b32_e32 v12, 3, v9
	v_cmp_eq_u32_e64 s[10:11], 0, v2
	v_and_b32_e32 v2, 0xc0, v0
	v_mad_u32_u24 v22, v9, 24, v11
	v_add_u32_e32 v23, v12, v11
	v_or_b32_e32 v11, 63, v2
	v_cmp_eq_u32_e64 s[14:15], v0, v11
	v_subrev_co_u32_e64 v11, s[20:21], 1, v9
	v_and_b32_e32 v13, 64, v9
	v_cmp_lt_i32_e32 vcc, v11, v13
	v_lshlrev_b32_e32 v24, 4, v0
	v_cmp_lt_u32_e64 s[12:13], 31, v9
	v_cndmask_b32_e32 v11, v11, v9, vcc
	v_and_b32_e32 v9, 3, v9
	s_movk_i32 s0, 0x100
	s_mov_b32 s34, 0
	v_lshlrev_b32_e32 v26, 2, v10
	v_mul_i32_i24_e32 v10, -12, v0
	v_mad_i32_i24 v27, v0, -12, v24
	v_cmp_eq_u32_e64 s[26:27], 0, v9
	v_cmp_lt_u32_e64 s[28:29], 1, v9
	v_mov_b32_e32 v9, 0x1800
	v_cmp_gt_u32_e64 s[0:1], s0, v0
	v_cmp_gt_u32_e64 s[16:17], 4, v0
	v_cmp_lt_u32_e64 s[18:19], 63, v0
	v_cmp_eq_u32_e64 s[22:23], 0, v0
	v_cmp_ne_u32_e64 s[24:25], 0, v0
	v_mul_u32_u24_e32 v28, 3, v0
	v_mad_u32_u24 v29, v0, 20, v27
	v_mad_u32_u24 v30, v0, 20, v10
	v_lshl_or_b32 v31, v0, 3, v9
	v_lshlrev_b32_e32 v9, 2, v0
	v_mad_u32_u24 v32, v0, 3, 2
	v_mad_u32_u24 v33, v0, 3, 1
	v_mul_u32_u24_e32 v0, 24, v2
	s_mov_b32 s30, s34
	v_lshlrev_b32_e32 v25, 2, v11
	v_sub_u32_e32 v2, 0, v9
	v_lshrrev_b32_e32 v1, 4, v1
	s_mov_b32 s35, s34
	s_mov_b32 s31, s34
	v_add_u32_e32 v37, v12, v0
	v_mov_b32_e32 v10, s34
	v_mov_b32_e32 v12, s30
	v_add_u32_e32 v34, -4, v26
	v_add_u32_e32 v35, -8, v30
	v_and_b32_e32 v36, 0xffffffc, v1
	v_mov_b32_e32 v38, 0x300
	v_add_u32_e32 v39, v30, v2
	v_mov_b32_e32 v11, s35
	v_mov_b32_e32 v13, s31
	s_branch .LBB50_2
.LBB50_1:                               ;   in Loop: Header=BB50_2 Depth=1
	s_or_b64 exec, exec, s[30:31]
	s_waitcnt lgkmcnt(0)
	s_barrier
	ds_read2st64_b32 v[0:1], v39 offset0:16 offset1:20
	ds_read_b64 v[16:17], v31
	s_add_i32 s34, s34, 1
	s_cmpk_lg_i32 s34, 0x64
	s_waitcnt lgkmcnt(1)
	v_sub_u32_e32 v0, v1, v0
	s_waitcnt lgkmcnt(0)
	v_add_co_u32_e32 v0, vcc, v16, v0
	v_addc_co_u32_e32 v1, vcc, 0, v17, vcc
	ds_write_b64 v31, v[0:1]
	s_cbranch_scc0 .LBB50_29
.LBB50_2:                               ; =>This Loop Header: Depth=1
                                        ;     Child Loop BB50_6 Depth 2
	s_and_saveexec_b64 s[30:31], s[0:1]
; %bb.3:                                ;   in Loop: Header=BB50_2 Depth=1
	v_mov_b32_e32 v9, v8
	ds_write_b64 v31, v[8:9]
; %bb.4:                                ;   in Loop: Header=BB50_2 Depth=1
	s_or_b64 exec, exec, s[30:31]
	s_waitcnt vmcnt(0) lgkmcnt(0)
	s_barrier
	ds_write2_b64 v22, v[3:4], v[5:6] offset1:1
	ds_write_b64 v22, v[14:15] offset:16
	; wave barrier
	ds_read2st64_b64 v[0:3], v23 offset1:1
	ds_read_b64 v[20:21], v23 offset:1024
	v_mov_b32_e32 v14, 0
	v_mov_b32_e32 v15, 0
	s_waitcnt lgkmcnt(0)
	s_barrier
	; wave barrier
	s_barrier
	s_branch .LBB50_6
.LBB50_5:                               ;   in Loop: Header=BB50_6 Depth=2
	s_andn2_b64 vcc, exec, s[30:31]
	s_cbranch_vccz .LBB50_20
.LBB50_6:                               ;   Parent Loop BB50_2 Depth=1
                                        ; =>  This Inner Loop Header: Depth=2
	v_mov_b32_e32 v19, v1
	v_mov_b32_e32 v18, v0
	v_lshrrev_b64 v[0:1], v14, v[18:19]
	v_mov_b32_e32 v17, v3
	v_lshlrev_b32_e32 v1, 4, v0
	v_and_b32_e32 v1, 0xff0, v1
	v_add_u32_e32 v6, v36, v1
	v_and_b32_e32 v1, 1, v0
	v_mov_b32_e32 v16, v2
	v_add_co_u32_e32 v2, vcc, -1, v1
	v_addc_co_u32_e64 v3, s[30:31], 0, -1, vcc
	v_cmp_ne_u32_e32 vcc, 0, v1
	v_lshlrev_b32_e32 v9, 30, v0
	v_xor_b32_e32 v1, vcc_hi, v3
	v_xor_b32_e32 v2, vcc_lo, v2
	v_cmp_gt_i64_e32 vcc, 0, v[8:9]
	v_not_b32_e32 v3, v9
	v_ashrrev_i32_e32 v3, 31, v3
	v_and_b32_e32 v1, exec_hi, v1
	v_xor_b32_e32 v9, vcc_hi, v3
	v_and_b32_e32 v2, exec_lo, v2
	v_xor_b32_e32 v3, vcc_lo, v3
	v_and_b32_e32 v1, v1, v9
	v_lshlrev_b32_e32 v9, 29, v0
	v_and_b32_e32 v2, v2, v3
	v_cmp_gt_i64_e32 vcc, 0, v[8:9]
	v_not_b32_e32 v3, v9
	v_ashrrev_i32_e32 v3, 31, v3
	v_xor_b32_e32 v9, vcc_hi, v3
	v_xor_b32_e32 v3, vcc_lo, v3
	v_and_b32_e32 v1, v1, v9
	v_lshlrev_b32_e32 v9, 28, v0
	v_and_b32_e32 v2, v2, v3
	v_cmp_gt_i64_e32 vcc, 0, v[8:9]
	v_not_b32_e32 v3, v9
	v_ashrrev_i32_e32 v3, 31, v3
	v_xor_b32_e32 v9, vcc_hi, v3
	;; [unrolled: 8-line block ×5, first 2 shown]
	v_and_b32_e32 v1, v1, v9
	v_lshlrev_b32_e32 v9, 24, v0
	v_xor_b32_e32 v3, vcc_lo, v3
	v_cmp_gt_i64_e32 vcc, 0, v[8:9]
	v_not_b32_e32 v0, v9
	v_ashrrev_i32_e32 v0, 31, v0
	v_and_b32_e32 v2, v2, v3
	v_xor_b32_e32 v3, vcc_hi, v0
	v_xor_b32_e32 v0, vcc_lo, v0
	v_and_b32_e32 v0, v2, v0
	v_mov_b32_e32 v4, v20
	v_and_b32_e32 v1, v1, v3
	v_mbcnt_lo_u32_b32 v2, v0, 0
	v_mov_b32_e32 v5, v21
	v_mbcnt_hi_u32_b32 v20, v1, v2
	v_cmp_ne_u64_e32 vcc, 0, v[0:1]
	v_cmp_eq_u32_e64 s[30:31], 0, v20
	s_and_b64 s[36:37], vcc, s[30:31]
	ds_write2_b64 v24, v[10:11], v[12:13] offset0:2 offset1:3
	s_waitcnt lgkmcnt(0)
	s_barrier
	; wave barrier
	s_and_saveexec_b64 s[30:31], s[36:37]
; %bb.7:                                ;   in Loop: Header=BB50_6 Depth=2
	v_bcnt_u32_b32 v0, v0, 0
	v_bcnt_u32_b32 v0, v1, v0
	ds_write_b32 v6, v0 offset:16
; %bb.8:                                ;   in Loop: Header=BB50_6 Depth=2
	s_or_b64 exec, exec, s[30:31]
	v_lshrrev_b64 v[0:1], v14, v[16:17]
	v_lshlrev_b32_e32 v1, 4, v0
	v_and_b32_e32 v1, 0xff0, v1
	v_add_u32_e32 v40, v36, v1
	v_and_b32_e32 v1, 1, v0
	v_add_co_u32_e32 v2, vcc, -1, v1
	v_addc_co_u32_e64 v3, s[30:31], 0, -1, vcc
	v_cmp_ne_u32_e32 vcc, 0, v1
	v_lshlrev_b32_e32 v9, 30, v0
	v_xor_b32_e32 v1, vcc_hi, v3
	v_xor_b32_e32 v2, vcc_lo, v2
	v_cmp_gt_i64_e32 vcc, 0, v[8:9]
	v_not_b32_e32 v3, v9
	v_ashrrev_i32_e32 v3, 31, v3
	v_and_b32_e32 v1, exec_hi, v1
	v_xor_b32_e32 v9, vcc_hi, v3
	v_and_b32_e32 v2, exec_lo, v2
	v_xor_b32_e32 v3, vcc_lo, v3
	v_and_b32_e32 v1, v1, v9
	v_lshlrev_b32_e32 v9, 29, v0
	v_and_b32_e32 v2, v2, v3
	v_cmp_gt_i64_e32 vcc, 0, v[8:9]
	v_not_b32_e32 v3, v9
	v_ashrrev_i32_e32 v3, 31, v3
	v_xor_b32_e32 v9, vcc_hi, v3
	v_xor_b32_e32 v3, vcc_lo, v3
	v_and_b32_e32 v1, v1, v9
	v_lshlrev_b32_e32 v9, 28, v0
	v_and_b32_e32 v2, v2, v3
	v_cmp_gt_i64_e32 vcc, 0, v[8:9]
	v_not_b32_e32 v3, v9
	v_ashrrev_i32_e32 v3, 31, v3
	v_xor_b32_e32 v9, vcc_hi, v3
	v_xor_b32_e32 v3, vcc_lo, v3
	v_and_b32_e32 v1, v1, v9
	v_lshlrev_b32_e32 v9, 27, v0
	v_and_b32_e32 v2, v2, v3
	v_cmp_gt_i64_e32 vcc, 0, v[8:9]
	v_not_b32_e32 v3, v9
	v_ashrrev_i32_e32 v3, 31, v3
	v_xor_b32_e32 v9, vcc_hi, v3
	v_xor_b32_e32 v3, vcc_lo, v3
	v_and_b32_e32 v1, v1, v9
	v_lshlrev_b32_e32 v9, 26, v0
	v_and_b32_e32 v2, v2, v3
	v_cmp_gt_i64_e32 vcc, 0, v[8:9]
	v_not_b32_e32 v3, v9
	v_ashrrev_i32_e32 v3, 31, v3
	v_xor_b32_e32 v9, vcc_hi, v3
	v_xor_b32_e32 v3, vcc_lo, v3
	v_and_b32_e32 v1, v1, v9
	v_lshlrev_b32_e32 v9, 25, v0
	v_and_b32_e32 v2, v2, v3
	v_cmp_gt_i64_e32 vcc, 0, v[8:9]
	v_not_b32_e32 v3, v9
	v_ashrrev_i32_e32 v3, 31, v3
	v_xor_b32_e32 v9, vcc_hi, v3
	v_and_b32_e32 v1, v1, v9
	v_lshlrev_b32_e32 v9, 24, v0
	v_xor_b32_e32 v3, vcc_lo, v3
	v_cmp_gt_i64_e32 vcc, 0, v[8:9]
	v_not_b32_e32 v0, v9
	v_ashrrev_i32_e32 v0, 31, v0
	v_and_b32_e32 v2, v2, v3
	v_xor_b32_e32 v3, vcc_hi, v0
	v_xor_b32_e32 v0, vcc_lo, v0
	; wave barrier
	ds_read_b32 v21, v40 offset:16
	v_and_b32_e32 v0, v2, v0
	v_and_b32_e32 v1, v1, v3
	v_mbcnt_lo_u32_b32 v2, v0, 0
	v_mbcnt_hi_u32_b32 v41, v1, v2
	v_cmp_ne_u64_e32 vcc, 0, v[0:1]
	v_cmp_eq_u32_e64 s[30:31], 0, v41
	s_and_b64 s[36:37], vcc, s[30:31]
	; wave barrier
	s_and_saveexec_b64 s[30:31], s[36:37]
	s_cbranch_execz .LBB50_10
; %bb.9:                                ;   in Loop: Header=BB50_6 Depth=2
	v_bcnt_u32_b32 v0, v0, 0
	v_bcnt_u32_b32 v0, v1, v0
	s_waitcnt lgkmcnt(0)
	v_add_u32_e32 v0, v21, v0
	ds_write_b32 v40, v0 offset:16
.LBB50_10:                              ;   in Loop: Header=BB50_6 Depth=2
	s_or_b64 exec, exec, s[30:31]
	v_lshrrev_b64 v[0:1], v14, v[4:5]
	v_lshlrev_b32_e32 v1, 4, v0
	v_and_b32_e32 v1, 0xff0, v1
	v_add_u32_e32 v43, v36, v1
	v_and_b32_e32 v1, 1, v0
	v_add_co_u32_e32 v2, vcc, -1, v1
	v_addc_co_u32_e64 v3, s[30:31], 0, -1, vcc
	v_cmp_ne_u32_e32 vcc, 0, v1
	v_lshlrev_b32_e32 v9, 30, v0
	v_xor_b32_e32 v1, vcc_hi, v3
	v_xor_b32_e32 v2, vcc_lo, v2
	v_cmp_gt_i64_e32 vcc, 0, v[8:9]
	v_not_b32_e32 v3, v9
	v_ashrrev_i32_e32 v3, 31, v3
	v_and_b32_e32 v1, exec_hi, v1
	v_xor_b32_e32 v9, vcc_hi, v3
	v_and_b32_e32 v2, exec_lo, v2
	v_xor_b32_e32 v3, vcc_lo, v3
	v_and_b32_e32 v1, v1, v9
	v_lshlrev_b32_e32 v9, 29, v0
	v_and_b32_e32 v2, v2, v3
	v_cmp_gt_i64_e32 vcc, 0, v[8:9]
	v_not_b32_e32 v3, v9
	v_ashrrev_i32_e32 v3, 31, v3
	v_xor_b32_e32 v9, vcc_hi, v3
	v_xor_b32_e32 v3, vcc_lo, v3
	v_and_b32_e32 v1, v1, v9
	v_lshlrev_b32_e32 v9, 28, v0
	v_and_b32_e32 v2, v2, v3
	v_cmp_gt_i64_e32 vcc, 0, v[8:9]
	v_not_b32_e32 v3, v9
	v_ashrrev_i32_e32 v3, 31, v3
	v_xor_b32_e32 v9, vcc_hi, v3
	;; [unrolled: 8-line block ×5, first 2 shown]
	v_and_b32_e32 v1, v1, v9
	v_lshlrev_b32_e32 v9, 24, v0
	v_xor_b32_e32 v3, vcc_lo, v3
	v_cmp_gt_i64_e32 vcc, 0, v[8:9]
	v_not_b32_e32 v0, v9
	v_ashrrev_i32_e32 v0, 31, v0
	v_and_b32_e32 v2, v2, v3
	v_xor_b32_e32 v3, vcc_hi, v0
	v_xor_b32_e32 v0, vcc_lo, v0
	; wave barrier
	ds_read_b32 v42, v43 offset:16
	v_and_b32_e32 v0, v2, v0
	v_and_b32_e32 v1, v1, v3
	v_mbcnt_lo_u32_b32 v2, v0, 0
	v_mbcnt_hi_u32_b32 v9, v1, v2
	v_cmp_ne_u64_e32 vcc, 0, v[0:1]
	v_cmp_eq_u32_e64 s[30:31], 0, v9
	s_and_b64 s[36:37], vcc, s[30:31]
	; wave barrier
	s_and_saveexec_b64 s[30:31], s[36:37]
	s_cbranch_execz .LBB50_12
; %bb.11:                               ;   in Loop: Header=BB50_6 Depth=2
	v_bcnt_u32_b32 v0, v0, 0
	v_bcnt_u32_b32 v0, v1, v0
	s_waitcnt lgkmcnt(0)
	v_add_u32_e32 v0, v42, v0
	ds_write_b32 v43, v0 offset:16
.LBB50_12:                              ;   in Loop: Header=BB50_6 Depth=2
	s_or_b64 exec, exec, s[30:31]
	; wave barrier
	s_waitcnt lgkmcnt(0)
	s_barrier
	ds_read2_b64 v[0:3], v24 offset0:2 offset1:3
	s_waitcnt lgkmcnt(0)
	v_add_u32_e32 v44, v1, v0
	v_add3_u32 v3, v44, v2, v3
	s_nop 1
	v_mov_b32_dpp v44, v3 row_shr:1 row_mask:0xf bank_mask:0xf
	v_cndmask_b32_e64 v44, v44, 0, s[2:3]
	v_add_u32_e32 v3, v44, v3
	s_nop 1
	v_mov_b32_dpp v44, v3 row_shr:2 row_mask:0xf bank_mask:0xf
	v_cndmask_b32_e64 v44, 0, v44, s[4:5]
	v_add_u32_e32 v3, v3, v44
	;; [unrolled: 4-line block ×4, first 2 shown]
	s_nop 1
	v_mov_b32_dpp v44, v3 row_bcast:15 row_mask:0xf bank_mask:0xf
	v_cndmask_b32_e64 v44, v44, 0, s[10:11]
	v_add_u32_e32 v3, v3, v44
	s_nop 1
	v_mov_b32_dpp v44, v3 row_bcast:31 row_mask:0xf bank_mask:0xf
	v_cndmask_b32_e64 v44, 0, v44, s[12:13]
	v_add_u32_e32 v3, v3, v44
	s_and_saveexec_b64 s[30:31], s[14:15]
; %bb.13:                               ;   in Loop: Header=BB50_6 Depth=2
	ds_write_b32 v26, v3
; %bb.14:                               ;   in Loop: Header=BB50_6 Depth=2
	s_or_b64 exec, exec, s[30:31]
	s_waitcnt lgkmcnt(0)
	s_barrier
	s_and_saveexec_b64 s[30:31], s[16:17]
	s_cbranch_execz .LBB50_16
; %bb.15:                               ;   in Loop: Header=BB50_6 Depth=2
	ds_read_b32 v44, v27
	s_waitcnt lgkmcnt(0)
	s_nop 0
	v_mov_b32_dpp v45, v44 row_shr:1 row_mask:0xf bank_mask:0xf
	v_cndmask_b32_e64 v45, v45, 0, s[26:27]
	v_add_u32_e32 v44, v45, v44
	s_nop 1
	v_mov_b32_dpp v45, v44 row_shr:2 row_mask:0xf bank_mask:0xf
	v_cndmask_b32_e64 v45, 0, v45, s[28:29]
	v_add_u32_e32 v44, v44, v45
	ds_write_b32 v27, v44
.LBB50_16:                              ;   in Loop: Header=BB50_6 Depth=2
	s_or_b64 exec, exec, s[30:31]
	v_mov_b32_e32 v44, 0
	s_waitcnt lgkmcnt(0)
	s_barrier
	s_and_saveexec_b64 s[30:31], s[18:19]
; %bb.17:                               ;   in Loop: Header=BB50_6 Depth=2
	ds_read_b32 v44, v34
; %bb.18:                               ;   in Loop: Header=BB50_6 Depth=2
	s_or_b64 exec, exec, s[30:31]
	s_waitcnt lgkmcnt(0)
	v_add_u32_e32 v3, v44, v3
	ds_bpermute_b32 v3, v25, v3
	v_cmp_lt_u32_e32 vcc, 55, v14
	s_and_b64 vcc, exec, vcc
	s_mov_b64 s[30:31], -1
	s_waitcnt lgkmcnt(0)
	v_cndmask_b32_e64 v3, v3, v44, s[20:21]
	v_cndmask_b32_e64 v44, v3, 0, s[22:23]
	v_add_u32_e32 v45, v44, v0
	v_add_u32_e32 v0, v45, v1
	v_add_u32_e32 v1, v0, v2
	ds_write2_b64 v24, v[44:45], v[0:1] offset0:2 offset1:3
	s_waitcnt lgkmcnt(0)
	s_barrier
	ds_read_b32 v0, v6 offset:16
	ds_read_b32 v1, v40 offset:16
	;; [unrolled: 1-line block ×3, first 2 shown]
	s_waitcnt lgkmcnt(2)
	v_add_u32_e32 v43, v0, v20
	s_waitcnt lgkmcnt(1)
	v_add3_u32 v40, v41, v21, v1
	s_waitcnt lgkmcnt(0)
	v_add3_u32 v6, v9, v42, v2
                                        ; implicit-def: $vgpr20_vgpr21
                                        ; implicit-def: $vgpr2_vgpr3
	s_cbranch_vccnz .LBB50_5
; %bb.19:                               ;   in Loop: Header=BB50_6 Depth=2
	v_lshlrev_b32_e32 v0, 3, v43
	s_barrier
	ds_write_b64 v0, v[18:19]
	v_lshlrev_b32_e32 v0, 3, v40
	ds_write_b64 v0, v[16:17]
	v_lshlrev_b32_e32 v0, 3, v6
	ds_write_b64 v0, v[4:5]
	s_waitcnt lgkmcnt(0)
	s_barrier
	ds_read2st64_b64 v[0:3], v37 offset1:1
	ds_read_b64 v[20:21], v37 offset:1024
	v_add_co_u32_e32 v14, vcc, 8, v14
	v_addc_co_u32_e32 v15, vcc, 0, v15, vcc
	s_mov_b64 s[30:31], 0
	s_waitcnt lgkmcnt(0)
	s_barrier
	s_branch .LBB50_5
.LBB50_20:                              ;   in Loop: Header=BB50_2 Depth=1
	v_lshlrev_b32_e32 v0, 3, v43
	s_barrier
	ds_write_b64 v0, v[18:19]
	v_lshlrev_b32_e32 v0, 3, v40
	ds_write_b64 v0, v[16:17]
	v_lshlrev_b32_e32 v0, 3, v6
	ds_write_b64 v0, v[4:5]
	s_waitcnt lgkmcnt(0)
	s_barrier
	ds_read2_b64 v[3:6], v29 offset1:1
	ds_read_b64 v[14:15], v29 offset:16
	s_waitcnt lgkmcnt(0)
	s_barrier
	v_lshlrev_b32_e32 v1, 2, v5
	v_cmp_ne_u32_e32 vcc, v5, v14
	ds_write2st64_b32 v39, v38, v38 offset0:16 offset1:20
	s_waitcnt lgkmcnt(0)
	s_barrier
	ds_write_b64 v30, v[14:15]
	s_and_saveexec_b64 s[30:31], vcc
	s_cbranch_execz .LBB50_22
; %bb.21:                               ;   in Loop: Header=BB50_2 Depth=1
	v_lshlrev_b32_e32 v0, 2, v14
	ds_write_b32 v0, v32 offset:4096
	ds_write_b32 v1, v32 offset:5120
.LBB50_22:                              ;   in Loop: Header=BB50_2 Depth=1
	s_or_b64 exec, exec, s[30:31]
	v_cmp_ne_u32_e32 vcc, v5, v3
	v_lshlrev_b32_e32 v0, 2, v3
	s_and_saveexec_b64 s[30:31], vcc
	s_cbranch_execz .LBB50_24
; %bb.23:                               ;   in Loop: Header=BB50_2 Depth=1
	ds_write_b32 v1, v33 offset:4096
	ds_write_b32 v0, v33 offset:5120
.LBB50_24:                              ;   in Loop: Header=BB50_2 Depth=1
	s_or_b64 exec, exec, s[30:31]
	s_waitcnt lgkmcnt(0)
	s_barrier
	s_and_saveexec_b64 s[30:31], s[24:25]
	s_cbranch_execz .LBB50_27
; %bb.25:                               ;   in Loop: Header=BB50_2 Depth=1
	ds_read_b32 v1, v35
	s_waitcnt lgkmcnt(0)
	v_cmp_ne_u32_e32 vcc, v1, v3
	s_and_b64 exec, exec, vcc
	s_cbranch_execz .LBB50_27
; %bb.26:                               ;   in Loop: Header=BB50_2 Depth=1
	ds_write_b32 v0, v28 offset:4096
	ds_read_b32 v1, v35
	s_waitcnt lgkmcnt(0)
	v_lshlrev_b32_e32 v1, 2, v1
	ds_write_b32 v1, v28 offset:5120
.LBB50_27:                              ;   in Loop: Header=BB50_2 Depth=1
	s_or_b64 exec, exec, s[30:31]
	s_waitcnt lgkmcnt(0)
	s_barrier
	s_and_saveexec_b64 s[30:31], s[22:23]
	s_cbranch_execz .LBB50_1
; %bb.28:                               ;   in Loop: Header=BB50_2 Depth=1
	ds_write_b32 v0, v8 offset:4096
	s_branch .LBB50_1
.LBB50_29:
	v_mov_b32_e32 v8, 0
	v_lshlrev_b64 v[2:3], 3, v[7:8]
	v_mov_b32_e32 v4, s39
	v_add_co_u32_e32 v2, vcc, s38, v2
	v_addc_co_u32_e32 v3, vcc, v4, v3, vcc
	global_store_dwordx2 v[2:3], v[0:1], off
	s_endpgm
	.section	.rodata,"a",@progbits
	.p2align	6, 0x0
	.amdhsa_kernel _Z6kernelI9histogramILN6hipcub23BlockHistogramAlgorithmE1EEyLj256ELj3ELj256ELj100EEvPKT0_PS4_
		.amdhsa_group_segment_fixed_size 8192
		.amdhsa_private_segment_fixed_size 0
		.amdhsa_kernarg_size 272
		.amdhsa_user_sgpr_count 6
		.amdhsa_user_sgpr_private_segment_buffer 1
		.amdhsa_user_sgpr_dispatch_ptr 0
		.amdhsa_user_sgpr_queue_ptr 0
		.amdhsa_user_sgpr_kernarg_segment_ptr 1
		.amdhsa_user_sgpr_dispatch_id 0
		.amdhsa_user_sgpr_flat_scratch_init 0
		.amdhsa_user_sgpr_private_segment_size 0
		.amdhsa_uses_dynamic_stack 0
		.amdhsa_system_sgpr_private_segment_wavefront_offset 0
		.amdhsa_system_sgpr_workgroup_id_x 1
		.amdhsa_system_sgpr_workgroup_id_y 0
		.amdhsa_system_sgpr_workgroup_id_z 0
		.amdhsa_system_sgpr_workgroup_info 0
		.amdhsa_system_vgpr_workitem_id 2
		.amdhsa_next_free_vgpr 46
		.amdhsa_next_free_sgpr 61
		.amdhsa_reserve_vcc 1
		.amdhsa_reserve_flat_scratch 0
		.amdhsa_float_round_mode_32 0
		.amdhsa_float_round_mode_16_64 0
		.amdhsa_float_denorm_mode_32 3
		.amdhsa_float_denorm_mode_16_64 3
		.amdhsa_dx10_clamp 1
		.amdhsa_ieee_mode 1
		.amdhsa_fp16_overflow 0
		.amdhsa_exception_fp_ieee_invalid_op 0
		.amdhsa_exception_fp_denorm_src 0
		.amdhsa_exception_fp_ieee_div_zero 0
		.amdhsa_exception_fp_ieee_overflow 0
		.amdhsa_exception_fp_ieee_underflow 0
		.amdhsa_exception_fp_ieee_inexact 0
		.amdhsa_exception_int_div_zero 0
	.end_amdhsa_kernel
	.section	.text._Z6kernelI9histogramILN6hipcub23BlockHistogramAlgorithmE1EEyLj256ELj3ELj256ELj100EEvPKT0_PS4_,"axG",@progbits,_Z6kernelI9histogramILN6hipcub23BlockHistogramAlgorithmE1EEyLj256ELj3ELj256ELj100EEvPKT0_PS4_,comdat
.Lfunc_end50:
	.size	_Z6kernelI9histogramILN6hipcub23BlockHistogramAlgorithmE1EEyLj256ELj3ELj256ELj100EEvPKT0_PS4_, .Lfunc_end50-_Z6kernelI9histogramILN6hipcub23BlockHistogramAlgorithmE1EEyLj256ELj3ELj256ELj100EEvPKT0_PS4_
                                        ; -- End function
	.set _Z6kernelI9histogramILN6hipcub23BlockHistogramAlgorithmE1EEyLj256ELj3ELj256ELj100EEvPKT0_PS4_.num_vgpr, 46
	.set _Z6kernelI9histogramILN6hipcub23BlockHistogramAlgorithmE1EEyLj256ELj3ELj256ELj100EEvPKT0_PS4_.num_agpr, 0
	.set _Z6kernelI9histogramILN6hipcub23BlockHistogramAlgorithmE1EEyLj256ELj3ELj256ELj100EEvPKT0_PS4_.numbered_sgpr, 40
	.set _Z6kernelI9histogramILN6hipcub23BlockHistogramAlgorithmE1EEyLj256ELj3ELj256ELj100EEvPKT0_PS4_.num_named_barrier, 0
	.set _Z6kernelI9histogramILN6hipcub23BlockHistogramAlgorithmE1EEyLj256ELj3ELj256ELj100EEvPKT0_PS4_.private_seg_size, 0
	.set _Z6kernelI9histogramILN6hipcub23BlockHistogramAlgorithmE1EEyLj256ELj3ELj256ELj100EEvPKT0_PS4_.uses_vcc, 1
	.set _Z6kernelI9histogramILN6hipcub23BlockHistogramAlgorithmE1EEyLj256ELj3ELj256ELj100EEvPKT0_PS4_.uses_flat_scratch, 0
	.set _Z6kernelI9histogramILN6hipcub23BlockHistogramAlgorithmE1EEyLj256ELj3ELj256ELj100EEvPKT0_PS4_.has_dyn_sized_stack, 0
	.set _Z6kernelI9histogramILN6hipcub23BlockHistogramAlgorithmE1EEyLj256ELj3ELj256ELj100EEvPKT0_PS4_.has_recursion, 0
	.set _Z6kernelI9histogramILN6hipcub23BlockHistogramAlgorithmE1EEyLj256ELj3ELj256ELj100EEvPKT0_PS4_.has_indirect_call, 0
	.section	.AMDGPU.csdata,"",@progbits
; Kernel info:
; codeLenInByte = 2664
; TotalNumSgprs: 44
; NumVgprs: 46
; ScratchSize: 0
; MemoryBound: 0
; FloatMode: 240
; IeeeMode: 1
; LDSByteSize: 8192 bytes/workgroup (compile time only)
; SGPRBlocks: 8
; VGPRBlocks: 11
; NumSGPRsForWavesPerEU: 65
; NumVGPRsForWavesPerEU: 46
; Occupancy: 5
; WaveLimiterHint : 0
; COMPUTE_PGM_RSRC2:SCRATCH_EN: 0
; COMPUTE_PGM_RSRC2:USER_SGPR: 6
; COMPUTE_PGM_RSRC2:TRAP_HANDLER: 0
; COMPUTE_PGM_RSRC2:TGID_X_EN: 1
; COMPUTE_PGM_RSRC2:TGID_Y_EN: 0
; COMPUTE_PGM_RSRC2:TGID_Z_EN: 0
; COMPUTE_PGM_RSRC2:TIDIG_COMP_CNT: 2
	.section	.text._Z6kernelI9histogramILN6hipcub23BlockHistogramAlgorithmE1EEyLj256ELj4ELj256ELj100EEvPKT0_PS4_,"axG",@progbits,_Z6kernelI9histogramILN6hipcub23BlockHistogramAlgorithmE1EEyLj256ELj4ELj256ELj100EEvPKT0_PS4_,comdat
	.protected	_Z6kernelI9histogramILN6hipcub23BlockHistogramAlgorithmE1EEyLj256ELj4ELj256ELj100EEvPKT0_PS4_ ; -- Begin function _Z6kernelI9histogramILN6hipcub23BlockHistogramAlgorithmE1EEyLj256ELj4ELj256ELj100EEvPKT0_PS4_
	.globl	_Z6kernelI9histogramILN6hipcub23BlockHistogramAlgorithmE1EEyLj256ELj4ELj256ELj100EEvPKT0_PS4_
	.p2align	8
	.type	_Z6kernelI9histogramILN6hipcub23BlockHistogramAlgorithmE1EEyLj256ELj4ELj256ELj100EEvPKT0_PS4_,@function
_Z6kernelI9histogramILN6hipcub23BlockHistogramAlgorithmE1EEyLj256ELj4ELj256ELj100EEvPKT0_PS4_: ; @_Z6kernelI9histogramILN6hipcub23BlockHistogramAlgorithmE1EEyLj256ELj4ELj256ELj100EEvPKT0_PS4_
; %bb.0:
	s_load_dwordx4 s[40:43], s[4:5], 0x0
	s_load_dword s7, s[4:5], 0x1c
	v_lshlrev_b32_e32 v25, 2, v0
	v_mov_b32_e32 v15, 0
	v_lshl_or_b32 v3, s6, 10, v25
	v_mov_b32_e32 v4, v15
	v_lshlrev_b64 v[3:4], 3, v[3:4]
	s_waitcnt lgkmcnt(0)
	v_mov_b32_e32 v5, s41
	v_add_co_u32_e32 v11, vcc, s40, v3
	v_addc_co_u32_e32 v12, vcc, v5, v4, vcc
	global_load_dwordx4 v[3:6], v[11:12], off offset:16
	global_load_dwordx4 v[7:10], v[11:12], off
	s_lshr_b32 s10, s7, 16
	v_mbcnt_lo_u32_b32 v11, -1, 0
	s_and_b32 s7, s7, 0xffff
	v_mad_u32_u24 v1, v2, s10, v1
	v_mbcnt_hi_u32_b32 v11, -1, v11
	v_mad_u64_u32 v[1:2], s[10:11], v1, s7, v[0:1]
	v_and_b32_e32 v2, 15, v11
	v_cmp_eq_u32_e64 s[10:11], 0, v2
	v_cmp_lt_u32_e64 s[12:13], 1, v2
	v_cmp_lt_u32_e64 s[14:15], 3, v2
	;; [unrolled: 1-line block ×3, first 2 shown]
	v_and_b32_e32 v2, 16, v11
	v_cmp_eq_u32_e64 s[18:19], 0, v2
	v_or_b32_e32 v2, 63, v0
	v_and_b32_e32 v14, 64, v11
	v_cmp_eq_u32_e64 s[22:23], v0, v2
	v_subrev_co_u32_e64 v2, s[28:29], 1, v11
	v_cmp_lt_i32_e32 vcc, v2, v14
	v_cndmask_b32_e32 v2, v2, v11, vcc
	v_lshlrev_b32_e32 v31, 2, v2
	v_lshrrev_b32_e32 v2, 4, v0
	v_lshlrev_b32_e32 v30, 4, v0
	v_and_b32_e32 v32, 12, v2
	v_lshlrev_b32_e32 v2, 5, v0
	s_mov_b32 s44, 0
	v_lshrrev_b32_e32 v12, 2, v11
	v_mad_i32_i24 v33, v0, -12, v30
	v_and_b32_e32 v2, 0x1800, v2
	v_or_b32_e32 v16, v12, v14
	v_add_u32_e32 v12, 48, v12
	v_lshl_or_b32 v35, v11, 3, v2
	v_mad_u32_u24 v36, v0, 28, v33
	s_movk_i32 s7, 0xffe8
	v_mov_b32_e32 v2, 0x2000
	s_mov_b32 s40, s44
	s_movk_i32 s0, 0x100
	v_and_b32_e32 v13, 3, v11
	v_lshlrev_b32_e32 v26, 2, v16
	v_and_or_b32 v12, v12, 63, v14
	v_mad_i32_i24 v37, v0, s7, v36
	v_lshl_or_b32 v38, v0, 3, v2
	v_sub_u32_e32 v2, 0, v25
	v_lshrrev_b32_e32 v1, 4, v1
	s_mov_b32 s45, s44
	s_mov_b32 s41, s44
	v_mov_b32_e32 v17, s44
	v_mov_b32_e32 v19, s40
	v_cmp_gt_u32_e64 s[0:1], s0, v0
	v_cmp_eq_u32_e64 s[2:3], 3, v13
	v_cmp_eq_u32_e64 s[4:5], 2, v13
	;; [unrolled: 1-line block ×4, first 2 shown]
	v_add_u32_e32 v27, 64, v26
	v_or_b32_e32 v28, 0x80, v26
	v_lshlrev_b32_e32 v29, 2, v12
	v_cmp_lt_u32_e64 s[20:21], 31, v11
	v_cmp_gt_u32_e64 s[24:25], 4, v0
	v_cmp_lt_u32_e64 s[26:27], 63, v0
	v_cmp_eq_u32_e64 s[30:31], 0, v0
	v_cmp_ne_u32_e64 s[34:35], 0, v0
	v_cmp_lt_u32_e64 s[36:37], 1, v13
	v_add_u32_e32 v34, -4, v32
	v_or_b32_e32 v39, 3, v25
	v_or_b32_e32 v40, 2, v25
	;; [unrolled: 1-line block ×3, first 2 shown]
	v_add_u32_e32 v42, -8, v37
	v_and_b32_e32 v43, 0xffffffc, v1
	v_mov_b32_e32 v18, s45
	v_mov_b32_e32 v20, s41
	v_add_u32_e32 v44, v37, v2
	v_mov_b32_e32 v45, 0x400
	s_branch .LBB51_2
.LBB51_1:                               ;   in Loop: Header=BB51_2 Depth=1
	s_or_b64 exec, exec, s[40:41]
	s_waitcnt lgkmcnt(0)
	s_barrier
	ds_read2st64_b32 v[1:2], v44 offset0:16 offset1:20
	ds_read_b64 v[11:12], v38
	s_add_i32 s44, s44, 1
	s_cmpk_lg_i32 s44, 0x64
	s_waitcnt lgkmcnt(1)
	v_sub_u32_e32 v1, v2, v1
	s_waitcnt lgkmcnt(0)
	v_add_co_u32_e32 v1, vcc, v11, v1
	v_addc_co_u32_e32 v2, vcc, 0, v12, vcc
	ds_write_b64 v38, v[1:2]
	s_cbranch_scc0 .LBB51_33
.LBB51_2:                               ; =>This Loop Header: Depth=1
                                        ;     Child Loop BB51_6 Depth 2
	s_and_saveexec_b64 s[40:41], s[0:1]
; %bb.3:                                ;   in Loop: Header=BB51_2 Depth=1
	v_mov_b32_e32 v16, v15
	ds_write_b64 v38, v[15:16]
; %bb.4:                                ;   in Loop: Header=BB51_2 Depth=1
	s_or_b64 exec, exec, s[40:41]
	s_waitcnt vmcnt(0)
	ds_bpermute_b32 v1, v26, v7
	ds_bpermute_b32 v2, v26, v8
	;; [unrolled: 1-line block ×5, first 2 shown]
	s_waitcnt lgkmcnt(4)
	v_cndmask_b32_e64 v1, 0, v1, s[8:9]
	s_waitcnt lgkmcnt(3)
	v_cndmask_b32_e64 v2, 0, v2, s[8:9]
	ds_bpermute_b32 v14, v26, v4
	s_waitcnt lgkmcnt(3)
	v_cndmask_b32_e64 v2, v2, v11, s[38:39]
	ds_bpermute_b32 v11, v26, v6
	s_waitcnt lgkmcnt(3)
	v_cndmask_b32_e64 v1, v1, v12, s[38:39]
	s_waitcnt lgkmcnt(2)
	v_cndmask_b32_e64 v1, v1, v13, s[4:5]
	ds_bpermute_b32 v13, v26, v5
	s_waitcnt lgkmcnt(2)
	v_cndmask_b32_e64 v2, v2, v14, s[4:5]
	s_waitcnt lgkmcnt(1)
	v_cndmask_b32_e64 v12, v2, v11, s[2:3]
	ds_bpermute_b32 v2, v27, v7
	ds_bpermute_b32 v14, v27, v8
	s_waitcnt lgkmcnt(2)
	v_cndmask_b32_e64 v11, v1, v13, s[2:3]
	ds_bpermute_b32 v1, v27, v9
	ds_bpermute_b32 v16, v27, v10
	s_waitcnt lgkmcnt(3)
	v_cndmask_b32_e64 v2, 0, v2, s[8:9]
	s_waitcnt lgkmcnt(2)
	v_cndmask_b32_e64 v13, 0, v14, s[8:9]
	ds_bpermute_b32 v14, v27, v3
	s_waitcnt lgkmcnt(2)
	v_cndmask_b32_e64 v1, v2, v1, s[38:39]
	ds_bpermute_b32 v2, v27, v4
	ds_bpermute_b32 v21, v27, v5
	s_waitcnt lgkmcnt(3)
	v_cndmask_b32_e64 v13, v13, v16, s[38:39]
	ds_bpermute_b32 v16, v27, v6
	ds_bpermute_b32 v22, v28, v7
	s_waitcnt lgkmcnt(4)
	v_cndmask_b32_e64 v1, v1, v14, s[4:5]
	s_waitcnt lgkmcnt(3)
	v_cndmask_b32_e64 v2, v13, v2, s[4:5]
	;; [unrolled: 2-line block ×3, first 2 shown]
	ds_bpermute_b32 v1, v28, v8
	ds_bpermute_b32 v21, v28, v9
	s_waitcnt lgkmcnt(3)
	v_cndmask_b32_e64 v14, v2, v16, s[2:3]
	s_waitcnt lgkmcnt(2)
	v_cndmask_b32_e64 v2, 0, v22, s[8:9]
	ds_bpermute_b32 v16, v28, v10
	ds_bpermute_b32 v22, v28, v3
	;; [unrolled: 1-line block ×6, first 2 shown]
	s_waitcnt lgkmcnt(7)
	v_cndmask_b32_e64 v1, 0, v1, s[8:9]
	ds_bpermute_b32 v23, v28, v4
	s_waitcnt lgkmcnt(7)
	v_cndmask_b32_e64 v2, v2, v21, s[38:39]
	ds_bpermute_b32 v3, v29, v3
	ds_bpermute_b32 v4, v29, v4
	s_waitcnt lgkmcnt(8)
	v_cndmask_b32_e64 v1, v1, v16, s[38:39]
	s_waitcnt lgkmcnt(7)
	v_cndmask_b32_e64 v16, v2, v22, s[4:5]
	ds_bpermute_b32 v2, v28, v6
	ds_bpermute_b32 v21, v28, v5
	;; [unrolled: 1-line block ×4, first 2 shown]
	s_waitcnt lgkmcnt(10)
	v_cndmask_b32_e64 v7, 0, v7, s[8:9]
	s_waitcnt lgkmcnt(9)
	v_cndmask_b32_e64 v8, 0, v8, s[8:9]
	;; [unrolled: 2-line block ×7, first 2 shown]
	v_mov_b32_e32 v9, 0
	s_waitcnt lgkmcnt(3)
	v_cndmask_b32_e64 v2, v1, v2, s[2:3]
	s_waitcnt lgkmcnt(2)
	v_cndmask_b32_e64 v1, v16, v21, s[2:3]
	;; [unrolled: 2-line block ×4, first 2 shown]
	v_mov_b32_e32 v10, 0
	s_barrier
	s_barrier
	s_branch .LBB51_6
.LBB51_5:                               ;   in Loop: Header=BB51_6 Depth=2
	s_andn2_b64 vcc, exec, s[40:41]
	s_cbranch_vccz .LBB51_22
.LBB51_6:                               ;   Parent Loop BB51_2 Depth=1
                                        ; =>  This Inner Loop Header: Depth=2
	v_mov_b32_e32 v24, v12
	v_mov_b32_e32 v8, v2
	;; [unrolled: 1-line block ×4, first 2 shown]
	v_lshrrev_b64 v[1:2], v9, v[23:24]
	v_mov_b32_e32 v6, v4
	v_lshlrev_b32_e32 v2, 4, v1
	v_and_b32_e32 v2, 0xff0, v2
	v_add_u32_e32 v11, v43, v2
	v_and_b32_e32 v2, 1, v1
	v_mov_b32_e32 v5, v3
	v_add_co_u32_e32 v3, vcc, -1, v2
	v_addc_co_u32_e64 v4, s[40:41], 0, -1, vcc
	v_cmp_ne_u32_e32 vcc, 0, v2
	v_lshlrev_b32_e32 v16, 30, v1
	v_xor_b32_e32 v2, vcc_hi, v4
	v_xor_b32_e32 v3, vcc_lo, v3
	v_cmp_gt_i64_e32 vcc, 0, v[15:16]
	v_not_b32_e32 v4, v16
	v_ashrrev_i32_e32 v4, 31, v4
	v_and_b32_e32 v3, exec_lo, v3
	v_xor_b32_e32 v12, vcc_hi, v4
	v_xor_b32_e32 v4, vcc_lo, v4
	v_lshlrev_b32_e32 v16, 29, v1
	v_and_b32_e32 v3, v3, v4
	v_cmp_gt_i64_e32 vcc, 0, v[15:16]
	v_not_b32_e32 v4, v16
	v_and_b32_e32 v2, exec_hi, v2
	v_ashrrev_i32_e32 v4, 31, v4
	v_and_b32_e32 v2, v2, v12
	v_xor_b32_e32 v12, vcc_hi, v4
	v_xor_b32_e32 v4, vcc_lo, v4
	v_lshlrev_b32_e32 v16, 28, v1
	v_and_b32_e32 v3, v3, v4
	v_cmp_gt_i64_e32 vcc, 0, v[15:16]
	v_not_b32_e32 v4, v16
	v_ashrrev_i32_e32 v4, 31, v4
	v_and_b32_e32 v2, v2, v12
	v_xor_b32_e32 v12, vcc_hi, v4
	v_xor_b32_e32 v4, vcc_lo, v4
	v_lshlrev_b32_e32 v16, 27, v1
	v_and_b32_e32 v3, v3, v4
	v_cmp_gt_i64_e32 vcc, 0, v[15:16]
	v_not_b32_e32 v4, v16
	;; [unrolled: 8-line block ×4, first 2 shown]
	v_ashrrev_i32_e32 v4, 31, v4
	v_lshlrev_b32_e32 v16, 24, v1
	v_and_b32_e32 v2, v2, v12
	v_xor_b32_e32 v12, vcc_hi, v4
	v_xor_b32_e32 v4, vcc_lo, v4
	v_cmp_gt_i64_e32 vcc, 0, v[15:16]
	v_not_b32_e32 v1, v16
	v_ashrrev_i32_e32 v1, 31, v1
	v_and_b32_e32 v3, v3, v4
	v_xor_b32_e32 v4, vcc_hi, v1
	v_xor_b32_e32 v1, vcc_lo, v1
	v_and_b32_e32 v2, v2, v12
	v_and_b32_e32 v1, v3, v1
	;; [unrolled: 1-line block ×3, first 2 shown]
	v_mbcnt_lo_u32_b32 v3, v1, 0
	v_mbcnt_hi_u32_b32 v12, v2, v3
	v_cmp_ne_u64_e32 vcc, 0, v[1:2]
	v_mov_b32_e32 v22, v14
	v_cmp_eq_u32_e64 s[40:41], 0, v12
	v_mov_b32_e32 v21, v13
	s_and_b64 s[46:47], vcc, s[40:41]
	ds_write2_b64 v30, v[17:18], v[19:20] offset0:2 offset1:3
	s_waitcnt lgkmcnt(0)
	s_barrier
	; wave barrier
	s_and_saveexec_b64 s[40:41], s[46:47]
; %bb.7:                                ;   in Loop: Header=BB51_6 Depth=2
	v_bcnt_u32_b32 v1, v1, 0
	v_bcnt_u32_b32 v1, v2, v1
	ds_write_b32 v11, v1 offset:16
; %bb.8:                                ;   in Loop: Header=BB51_6 Depth=2
	s_or_b64 exec, exec, s[40:41]
	v_lshrrev_b64 v[1:2], v9, v[21:22]
	v_lshlrev_b32_e32 v2, 4, v1
	v_and_b32_e32 v2, 0xff0, v2
	v_add_u32_e32 v14, v43, v2
	v_and_b32_e32 v2, 1, v1
	v_add_co_u32_e32 v3, vcc, -1, v2
	v_addc_co_u32_e64 v4, s[40:41], 0, -1, vcc
	v_cmp_ne_u32_e32 vcc, 0, v2
	v_lshlrev_b32_e32 v16, 30, v1
	v_xor_b32_e32 v2, vcc_hi, v4
	v_xor_b32_e32 v3, vcc_lo, v3
	v_cmp_gt_i64_e32 vcc, 0, v[15:16]
	v_not_b32_e32 v4, v16
	v_ashrrev_i32_e32 v4, 31, v4
	v_and_b32_e32 v2, exec_hi, v2
	v_xor_b32_e32 v16, vcc_hi, v4
	v_and_b32_e32 v3, exec_lo, v3
	v_xor_b32_e32 v4, vcc_lo, v4
	v_and_b32_e32 v2, v2, v16
	v_lshlrev_b32_e32 v16, 29, v1
	v_and_b32_e32 v3, v3, v4
	v_cmp_gt_i64_e32 vcc, 0, v[15:16]
	v_not_b32_e32 v4, v16
	v_ashrrev_i32_e32 v4, 31, v4
	v_xor_b32_e32 v16, vcc_hi, v4
	v_xor_b32_e32 v4, vcc_lo, v4
	v_and_b32_e32 v2, v2, v16
	v_lshlrev_b32_e32 v16, 28, v1
	v_and_b32_e32 v3, v3, v4
	v_cmp_gt_i64_e32 vcc, 0, v[15:16]
	v_not_b32_e32 v4, v16
	v_ashrrev_i32_e32 v4, 31, v4
	v_xor_b32_e32 v16, vcc_hi, v4
	v_xor_b32_e32 v4, vcc_lo, v4
	v_and_b32_e32 v2, v2, v16
	v_lshlrev_b32_e32 v16, 27, v1
	v_and_b32_e32 v3, v3, v4
	v_cmp_gt_i64_e32 vcc, 0, v[15:16]
	v_not_b32_e32 v4, v16
	v_ashrrev_i32_e32 v4, 31, v4
	v_xor_b32_e32 v16, vcc_hi, v4
	v_xor_b32_e32 v4, vcc_lo, v4
	v_and_b32_e32 v2, v2, v16
	v_lshlrev_b32_e32 v16, 26, v1
	v_and_b32_e32 v3, v3, v4
	v_cmp_gt_i64_e32 vcc, 0, v[15:16]
	v_not_b32_e32 v4, v16
	v_ashrrev_i32_e32 v4, 31, v4
	v_xor_b32_e32 v16, vcc_hi, v4
	v_xor_b32_e32 v4, vcc_lo, v4
	v_and_b32_e32 v2, v2, v16
	v_lshlrev_b32_e32 v16, 25, v1
	v_and_b32_e32 v3, v3, v4
	v_cmp_gt_i64_e32 vcc, 0, v[15:16]
	v_not_b32_e32 v4, v16
	v_ashrrev_i32_e32 v4, 31, v4
	v_xor_b32_e32 v16, vcc_hi, v4
	v_and_b32_e32 v2, v2, v16
	v_lshlrev_b32_e32 v16, 24, v1
	v_xor_b32_e32 v4, vcc_lo, v4
	v_cmp_gt_i64_e32 vcc, 0, v[15:16]
	v_not_b32_e32 v1, v16
	v_ashrrev_i32_e32 v1, 31, v1
	v_and_b32_e32 v3, v3, v4
	v_xor_b32_e32 v4, vcc_hi, v1
	v_xor_b32_e32 v1, vcc_lo, v1
	; wave barrier
	ds_read_b32 v13, v14 offset:16
	v_and_b32_e32 v1, v3, v1
	v_and_b32_e32 v2, v2, v4
	v_mbcnt_lo_u32_b32 v3, v1, 0
	v_mbcnt_hi_u32_b32 v46, v2, v3
	v_cmp_ne_u64_e32 vcc, 0, v[1:2]
	v_cmp_eq_u32_e64 s[40:41], 0, v46
	s_and_b64 s[46:47], vcc, s[40:41]
	; wave barrier
	s_and_saveexec_b64 s[40:41], s[46:47]
	s_cbranch_execz .LBB51_10
; %bb.9:                                ;   in Loop: Header=BB51_6 Depth=2
	v_bcnt_u32_b32 v1, v1, 0
	v_bcnt_u32_b32 v1, v2, v1
	s_waitcnt lgkmcnt(0)
	v_add_u32_e32 v1, v13, v1
	ds_write_b32 v14, v1 offset:16
.LBB51_10:                              ;   in Loop: Header=BB51_6 Depth=2
	s_or_b64 exec, exec, s[40:41]
	v_lshrrev_b64 v[1:2], v9, v[7:8]
	v_lshlrev_b32_e32 v2, 4, v1
	v_and_b32_e32 v2, 0xff0, v2
	v_add_u32_e32 v48, v43, v2
	v_and_b32_e32 v2, 1, v1
	v_add_co_u32_e32 v3, vcc, -1, v2
	v_addc_co_u32_e64 v4, s[40:41], 0, -1, vcc
	v_cmp_ne_u32_e32 vcc, 0, v2
	v_lshlrev_b32_e32 v16, 30, v1
	v_xor_b32_e32 v2, vcc_hi, v4
	v_xor_b32_e32 v3, vcc_lo, v3
	v_cmp_gt_i64_e32 vcc, 0, v[15:16]
	v_not_b32_e32 v4, v16
	v_ashrrev_i32_e32 v4, 31, v4
	v_and_b32_e32 v2, exec_hi, v2
	v_xor_b32_e32 v16, vcc_hi, v4
	v_and_b32_e32 v3, exec_lo, v3
	v_xor_b32_e32 v4, vcc_lo, v4
	v_and_b32_e32 v2, v2, v16
	v_lshlrev_b32_e32 v16, 29, v1
	v_and_b32_e32 v3, v3, v4
	v_cmp_gt_i64_e32 vcc, 0, v[15:16]
	v_not_b32_e32 v4, v16
	v_ashrrev_i32_e32 v4, 31, v4
	v_xor_b32_e32 v16, vcc_hi, v4
	v_xor_b32_e32 v4, vcc_lo, v4
	v_and_b32_e32 v2, v2, v16
	v_lshlrev_b32_e32 v16, 28, v1
	v_and_b32_e32 v3, v3, v4
	v_cmp_gt_i64_e32 vcc, 0, v[15:16]
	v_not_b32_e32 v4, v16
	v_ashrrev_i32_e32 v4, 31, v4
	v_xor_b32_e32 v16, vcc_hi, v4
	;; [unrolled: 8-line block ×5, first 2 shown]
	v_and_b32_e32 v2, v2, v16
	v_lshlrev_b32_e32 v16, 24, v1
	v_xor_b32_e32 v4, vcc_lo, v4
	v_cmp_gt_i64_e32 vcc, 0, v[15:16]
	v_not_b32_e32 v1, v16
	v_ashrrev_i32_e32 v1, 31, v1
	v_and_b32_e32 v3, v3, v4
	v_xor_b32_e32 v4, vcc_hi, v1
	v_xor_b32_e32 v1, vcc_lo, v1
	; wave barrier
	ds_read_b32 v47, v48 offset:16
	v_and_b32_e32 v1, v3, v1
	v_and_b32_e32 v2, v2, v4
	v_mbcnt_lo_u32_b32 v3, v1, 0
	v_mbcnt_hi_u32_b32 v49, v2, v3
	v_cmp_ne_u64_e32 vcc, 0, v[1:2]
	v_cmp_eq_u32_e64 s[40:41], 0, v49
	s_and_b64 s[46:47], vcc, s[40:41]
	; wave barrier
	s_and_saveexec_b64 s[40:41], s[46:47]
	s_cbranch_execz .LBB51_12
; %bb.11:                               ;   in Loop: Header=BB51_6 Depth=2
	v_bcnt_u32_b32 v1, v1, 0
	v_bcnt_u32_b32 v1, v2, v1
	s_waitcnt lgkmcnt(0)
	v_add_u32_e32 v1, v47, v1
	ds_write_b32 v48, v1 offset:16
.LBB51_12:                              ;   in Loop: Header=BB51_6 Depth=2
	s_or_b64 exec, exec, s[40:41]
	v_lshrrev_b64 v[1:2], v9, v[5:6]
	v_lshlrev_b32_e32 v2, 4, v1
	v_and_b32_e32 v2, 0xff0, v2
	v_add_u32_e32 v51, v43, v2
	v_and_b32_e32 v2, 1, v1
	v_add_co_u32_e32 v3, vcc, -1, v2
	v_addc_co_u32_e64 v4, s[40:41], 0, -1, vcc
	v_cmp_ne_u32_e32 vcc, 0, v2
	v_lshlrev_b32_e32 v16, 30, v1
	v_xor_b32_e32 v2, vcc_hi, v4
	v_xor_b32_e32 v3, vcc_lo, v3
	v_cmp_gt_i64_e32 vcc, 0, v[15:16]
	v_not_b32_e32 v4, v16
	v_ashrrev_i32_e32 v4, 31, v4
	v_and_b32_e32 v2, exec_hi, v2
	v_xor_b32_e32 v16, vcc_hi, v4
	v_and_b32_e32 v3, exec_lo, v3
	v_xor_b32_e32 v4, vcc_lo, v4
	v_and_b32_e32 v2, v2, v16
	v_lshlrev_b32_e32 v16, 29, v1
	v_and_b32_e32 v3, v3, v4
	v_cmp_gt_i64_e32 vcc, 0, v[15:16]
	v_not_b32_e32 v4, v16
	v_ashrrev_i32_e32 v4, 31, v4
	v_xor_b32_e32 v16, vcc_hi, v4
	v_xor_b32_e32 v4, vcc_lo, v4
	v_and_b32_e32 v2, v2, v16
	v_lshlrev_b32_e32 v16, 28, v1
	v_and_b32_e32 v3, v3, v4
	v_cmp_gt_i64_e32 vcc, 0, v[15:16]
	v_not_b32_e32 v4, v16
	v_ashrrev_i32_e32 v4, 31, v4
	v_xor_b32_e32 v16, vcc_hi, v4
	;; [unrolled: 8-line block ×5, first 2 shown]
	v_and_b32_e32 v2, v2, v16
	v_lshlrev_b32_e32 v16, 24, v1
	v_xor_b32_e32 v4, vcc_lo, v4
	v_cmp_gt_i64_e32 vcc, 0, v[15:16]
	v_not_b32_e32 v1, v16
	v_ashrrev_i32_e32 v1, 31, v1
	v_and_b32_e32 v3, v3, v4
	v_xor_b32_e32 v4, vcc_hi, v1
	v_xor_b32_e32 v1, vcc_lo, v1
	; wave barrier
	ds_read_b32 v50, v51 offset:16
	v_and_b32_e32 v1, v3, v1
	v_and_b32_e32 v2, v2, v4
	v_mbcnt_lo_u32_b32 v3, v1, 0
	v_mbcnt_hi_u32_b32 v16, v2, v3
	v_cmp_ne_u64_e32 vcc, 0, v[1:2]
	v_cmp_eq_u32_e64 s[40:41], 0, v16
	s_and_b64 s[46:47], vcc, s[40:41]
	; wave barrier
	s_and_saveexec_b64 s[40:41], s[46:47]
	s_cbranch_execz .LBB51_14
; %bb.13:                               ;   in Loop: Header=BB51_6 Depth=2
	v_bcnt_u32_b32 v1, v1, 0
	v_bcnt_u32_b32 v1, v2, v1
	s_waitcnt lgkmcnt(0)
	v_add_u32_e32 v1, v50, v1
	ds_write_b32 v51, v1 offset:16
.LBB51_14:                              ;   in Loop: Header=BB51_6 Depth=2
	s_or_b64 exec, exec, s[40:41]
	; wave barrier
	s_waitcnt lgkmcnt(0)
	s_barrier
	ds_read2_b64 v[1:4], v30 offset0:2 offset1:3
	s_waitcnt lgkmcnt(0)
	v_add_u32_e32 v52, v2, v1
	v_add3_u32 v4, v52, v3, v4
	s_nop 1
	v_mov_b32_dpp v52, v4 row_shr:1 row_mask:0xf bank_mask:0xf
	v_cndmask_b32_e64 v52, v52, 0, s[10:11]
	v_add_u32_e32 v4, v52, v4
	s_nop 1
	v_mov_b32_dpp v52, v4 row_shr:2 row_mask:0xf bank_mask:0xf
	v_cndmask_b32_e64 v52, 0, v52, s[12:13]
	v_add_u32_e32 v4, v4, v52
	;; [unrolled: 4-line block ×4, first 2 shown]
	s_nop 1
	v_mov_b32_dpp v52, v4 row_bcast:15 row_mask:0xf bank_mask:0xf
	v_cndmask_b32_e64 v52, v52, 0, s[18:19]
	v_add_u32_e32 v4, v4, v52
	s_nop 1
	v_mov_b32_dpp v52, v4 row_bcast:31 row_mask:0xf bank_mask:0xf
	v_cndmask_b32_e64 v52, 0, v52, s[20:21]
	v_add_u32_e32 v4, v4, v52
	s_and_saveexec_b64 s[40:41], s[22:23]
; %bb.15:                               ;   in Loop: Header=BB51_6 Depth=2
	ds_write_b32 v32, v4
; %bb.16:                               ;   in Loop: Header=BB51_6 Depth=2
	s_or_b64 exec, exec, s[40:41]
	s_waitcnt lgkmcnt(0)
	s_barrier
	s_and_saveexec_b64 s[40:41], s[24:25]
	s_cbranch_execz .LBB51_18
; %bb.17:                               ;   in Loop: Header=BB51_6 Depth=2
	ds_read_b32 v52, v33
	s_waitcnt lgkmcnt(0)
	s_nop 0
	v_mov_b32_dpp v53, v52 row_shr:1 row_mask:0xf bank_mask:0xf
	v_cndmask_b32_e64 v53, v53, 0, s[8:9]
	v_add_u32_e32 v52, v53, v52
	s_nop 1
	v_mov_b32_dpp v53, v52 row_shr:2 row_mask:0xf bank_mask:0xf
	v_cndmask_b32_e64 v53, 0, v53, s[36:37]
	v_add_u32_e32 v52, v52, v53
	ds_write_b32 v33, v52
.LBB51_18:                              ;   in Loop: Header=BB51_6 Depth=2
	s_or_b64 exec, exec, s[40:41]
	v_mov_b32_e32 v52, 0
	s_waitcnt lgkmcnt(0)
	s_barrier
	s_and_saveexec_b64 s[40:41], s[26:27]
; %bb.19:                               ;   in Loop: Header=BB51_6 Depth=2
	ds_read_b32 v52, v34
; %bb.20:                               ;   in Loop: Header=BB51_6 Depth=2
	s_or_b64 exec, exec, s[40:41]
	s_waitcnt lgkmcnt(0)
	v_add_u32_e32 v4, v52, v4
	ds_bpermute_b32 v4, v31, v4
	v_cmp_lt_u32_e32 vcc, 55, v9
	s_and_b64 vcc, exec, vcc
	s_mov_b64 s[40:41], -1
	s_waitcnt lgkmcnt(0)
	v_cndmask_b32_e64 v4, v4, v52, s[28:29]
	v_cndmask_b32_e64 v52, v4, 0, s[30:31]
	v_add_u32_e32 v53, v52, v1
	v_add_u32_e32 v1, v53, v2
	;; [unrolled: 1-line block ×3, first 2 shown]
	ds_write2_b64 v30, v[52:53], v[1:2] offset0:2 offset1:3
	s_waitcnt lgkmcnt(0)
	s_barrier
	ds_read_b32 v1, v11 offset:16
	ds_read_b32 v2, v14 offset:16
	;; [unrolled: 1-line block ×4, first 2 shown]
	s_waitcnt lgkmcnt(3)
	v_add_u32_e32 v51, v1, v12
	s_waitcnt lgkmcnt(2)
	v_add3_u32 v48, v46, v13, v2
	s_waitcnt lgkmcnt(1)
	v_add3_u32 v46, v49, v47, v3
	;; [unrolled: 2-line block ×3, first 2 shown]
                                        ; implicit-def: $vgpr11_vgpr12
                                        ; implicit-def: $vgpr1_vgpr2
	s_cbranch_vccnz .LBB51_5
; %bb.21:                               ;   in Loop: Header=BB51_6 Depth=2
	v_lshlrev_b32_e32 v1, 3, v51
	s_barrier
	ds_write_b64 v1, v[23:24]
	v_lshlrev_b32_e32 v1, 3, v48
	ds_write_b64 v1, v[21:22]
	v_lshlrev_b32_e32 v1, 3, v46
	;; [unrolled: 2-line block ×3, first 2 shown]
	ds_write_b64 v1, v[5:6]
	s_waitcnt lgkmcnt(0)
	s_barrier
	ds_read2st64_b64 v[11:14], v35 offset1:1
	ds_read2st64_b64 v[1:4], v35 offset0:2 offset1:3
	v_add_co_u32_e32 v9, vcc, 8, v9
	v_addc_co_u32_e32 v10, vcc, 0, v10, vcc
	s_mov_b64 s[40:41], 0
	s_waitcnt lgkmcnt(0)
	s_barrier
	s_branch .LBB51_5
.LBB51_22:                              ;   in Loop: Header=BB51_2 Depth=1
	v_lshlrev_b32_e32 v1, 3, v51
	s_barrier
	ds_write_b64 v1, v[23:24]
	v_lshlrev_b32_e32 v1, 3, v48
	ds_write_b64 v1, v[21:22]
	v_lshlrev_b32_e32 v1, 3, v46
	;; [unrolled: 2-line block ×3, first 2 shown]
	ds_write_b64 v1, v[5:6]
	s_waitcnt lgkmcnt(0)
	s_barrier
	ds_read2_b64 v[3:6], v36 offset0:2 offset1:3
	ds_read2_b64 v[7:10], v36 offset1:1
	s_waitcnt lgkmcnt(0)
	s_barrier
	v_mov_b32_e32 v1, v3
	v_cmp_ne_u32_e32 vcc, v3, v5
	v_lshlrev_b32_e32 v11, 2, v3
	ds_write2st64_b32 v44, v45, v45 offset0:16 offset1:20
	s_waitcnt lgkmcnt(0)
	s_barrier
	ds_write_b64 v37, v[5:6]
	s_and_saveexec_b64 s[40:41], vcc
	s_cbranch_execz .LBB51_24
; %bb.23:                               ;   in Loop: Header=BB51_2 Depth=1
	v_lshlrev_b32_e32 v2, 2, v5
	ds_write_b32 v2, v39 offset:4096
	ds_write_b32 v11, v39 offset:5120
.LBB51_24:                              ;   in Loop: Header=BB51_2 Depth=1
	s_or_b64 exec, exec, s[40:41]
	v_cmp_ne_u32_e32 vcc, v3, v9
	v_lshlrev_b32_e32 v2, 2, v9
	s_and_saveexec_b64 s[40:41], vcc
	s_cbranch_execz .LBB51_26
; %bb.25:                               ;   in Loop: Header=BB51_2 Depth=1
	v_mov_b32_e32 v1, v9
	ds_write_b32 v11, v40 offset:4096
	ds_write_b32 v2, v40 offset:5120
.LBB51_26:                              ;   in Loop: Header=BB51_2 Depth=1
	s_or_b64 exec, exec, s[40:41]
	v_cmp_ne_u32_e32 vcc, v1, v7
	v_lshlrev_b32_e32 v1, 2, v7
	s_and_saveexec_b64 s[40:41], vcc
	s_cbranch_execz .LBB51_28
; %bb.27:                               ;   in Loop: Header=BB51_2 Depth=1
	ds_write_b32 v2, v41 offset:4096
	ds_write_b32 v1, v41 offset:5120
.LBB51_28:                              ;   in Loop: Header=BB51_2 Depth=1
	s_or_b64 exec, exec, s[40:41]
	s_waitcnt lgkmcnt(0)
	s_barrier
	s_and_saveexec_b64 s[40:41], s[34:35]
	s_cbranch_execz .LBB51_31
; %bb.29:                               ;   in Loop: Header=BB51_2 Depth=1
	ds_read_b32 v2, v42
	s_waitcnt lgkmcnt(0)
	v_cmp_ne_u32_e32 vcc, v2, v7
	s_and_b64 exec, exec, vcc
	s_cbranch_execz .LBB51_31
; %bb.30:                               ;   in Loop: Header=BB51_2 Depth=1
	ds_write_b32 v1, v25 offset:4096
	ds_read_b32 v2, v42
	s_waitcnt lgkmcnt(0)
	v_lshlrev_b32_e32 v2, 2, v2
	ds_write_b32 v2, v25 offset:5120
.LBB51_31:                              ;   in Loop: Header=BB51_2 Depth=1
	s_or_b64 exec, exec, s[40:41]
	s_waitcnt lgkmcnt(0)
	s_barrier
	s_and_saveexec_b64 s[40:41], s[30:31]
	s_cbranch_execz .LBB51_1
; %bb.32:                               ;   in Loop: Header=BB51_2 Depth=1
	ds_write_b32 v1, v15 offset:4096
	s_branch .LBB51_1
.LBB51_33:
	v_lshl_or_b32 v3, s6, 8, v0
	v_mov_b32_e32 v4, 0
	v_lshlrev_b64 v[3:4], 3, v[3:4]
	v_mov_b32_e32 v0, s43
	v_add_co_u32_e32 v3, vcc, s42, v3
	v_addc_co_u32_e32 v4, vcc, v0, v4, vcc
	global_store_dwordx2 v[3:4], v[1:2], off
	s_endpgm
	.section	.rodata,"a",@progbits
	.p2align	6, 0x0
	.amdhsa_kernel _Z6kernelI9histogramILN6hipcub23BlockHistogramAlgorithmE1EEyLj256ELj4ELj256ELj100EEvPKT0_PS4_
		.amdhsa_group_segment_fixed_size 10240
		.amdhsa_private_segment_fixed_size 0
		.amdhsa_kernarg_size 272
		.amdhsa_user_sgpr_count 6
		.amdhsa_user_sgpr_private_segment_buffer 1
		.amdhsa_user_sgpr_dispatch_ptr 0
		.amdhsa_user_sgpr_queue_ptr 0
		.amdhsa_user_sgpr_kernarg_segment_ptr 1
		.amdhsa_user_sgpr_dispatch_id 0
		.amdhsa_user_sgpr_flat_scratch_init 0
		.amdhsa_user_sgpr_private_segment_size 0
		.amdhsa_uses_dynamic_stack 0
		.amdhsa_system_sgpr_private_segment_wavefront_offset 0
		.amdhsa_system_sgpr_workgroup_id_x 1
		.amdhsa_system_sgpr_workgroup_id_y 0
		.amdhsa_system_sgpr_workgroup_id_z 0
		.amdhsa_system_sgpr_workgroup_info 0
		.amdhsa_system_vgpr_workitem_id 2
		.amdhsa_next_free_vgpr 54
		.amdhsa_next_free_sgpr 93
		.amdhsa_reserve_vcc 1
		.amdhsa_reserve_flat_scratch 0
		.amdhsa_float_round_mode_32 0
		.amdhsa_float_round_mode_16_64 0
		.amdhsa_float_denorm_mode_32 3
		.amdhsa_float_denorm_mode_16_64 3
		.amdhsa_dx10_clamp 1
		.amdhsa_ieee_mode 1
		.amdhsa_fp16_overflow 0
		.amdhsa_exception_fp_ieee_invalid_op 0
		.amdhsa_exception_fp_denorm_src 0
		.amdhsa_exception_fp_ieee_div_zero 0
		.amdhsa_exception_fp_ieee_overflow 0
		.amdhsa_exception_fp_ieee_underflow 0
		.amdhsa_exception_fp_ieee_inexact 0
		.amdhsa_exception_int_div_zero 0
	.end_amdhsa_kernel
	.section	.text._Z6kernelI9histogramILN6hipcub23BlockHistogramAlgorithmE1EEyLj256ELj4ELj256ELj100EEvPKT0_PS4_,"axG",@progbits,_Z6kernelI9histogramILN6hipcub23BlockHistogramAlgorithmE1EEyLj256ELj4ELj256ELj100EEvPKT0_PS4_,comdat
.Lfunc_end51:
	.size	_Z6kernelI9histogramILN6hipcub23BlockHistogramAlgorithmE1EEyLj256ELj4ELj256ELj100EEvPKT0_PS4_, .Lfunc_end51-_Z6kernelI9histogramILN6hipcub23BlockHistogramAlgorithmE1EEyLj256ELj4ELj256ELj100EEvPKT0_PS4_
                                        ; -- End function
	.set _Z6kernelI9histogramILN6hipcub23BlockHistogramAlgorithmE1EEyLj256ELj4ELj256ELj100EEvPKT0_PS4_.num_vgpr, 54
	.set _Z6kernelI9histogramILN6hipcub23BlockHistogramAlgorithmE1EEyLj256ELj4ELj256ELj100EEvPKT0_PS4_.num_agpr, 0
	.set _Z6kernelI9histogramILN6hipcub23BlockHistogramAlgorithmE1EEyLj256ELj4ELj256ELj100EEvPKT0_PS4_.numbered_sgpr, 48
	.set _Z6kernelI9histogramILN6hipcub23BlockHistogramAlgorithmE1EEyLj256ELj4ELj256ELj100EEvPKT0_PS4_.num_named_barrier, 0
	.set _Z6kernelI9histogramILN6hipcub23BlockHistogramAlgorithmE1EEyLj256ELj4ELj256ELj100EEvPKT0_PS4_.private_seg_size, 0
	.set _Z6kernelI9histogramILN6hipcub23BlockHistogramAlgorithmE1EEyLj256ELj4ELj256ELj100EEvPKT0_PS4_.uses_vcc, 1
	.set _Z6kernelI9histogramILN6hipcub23BlockHistogramAlgorithmE1EEyLj256ELj4ELj256ELj100EEvPKT0_PS4_.uses_flat_scratch, 0
	.set _Z6kernelI9histogramILN6hipcub23BlockHistogramAlgorithmE1EEyLj256ELj4ELj256ELj100EEvPKT0_PS4_.has_dyn_sized_stack, 0
	.set _Z6kernelI9histogramILN6hipcub23BlockHistogramAlgorithmE1EEyLj256ELj4ELj256ELj100EEvPKT0_PS4_.has_recursion, 0
	.set _Z6kernelI9histogramILN6hipcub23BlockHistogramAlgorithmE1EEyLj256ELj4ELj256ELj100EEvPKT0_PS4_.has_indirect_call, 0
	.section	.AMDGPU.csdata,"",@progbits
; Kernel info:
; codeLenInByte = 3700
; TotalNumSgprs: 52
; NumVgprs: 54
; ScratchSize: 0
; MemoryBound: 0
; FloatMode: 240
; IeeeMode: 1
; LDSByteSize: 10240 bytes/workgroup (compile time only)
; SGPRBlocks: 12
; VGPRBlocks: 13
; NumSGPRsForWavesPerEU: 97
; NumVGPRsForWavesPerEU: 54
; Occupancy: 4
; WaveLimiterHint : 0
; COMPUTE_PGM_RSRC2:SCRATCH_EN: 0
; COMPUTE_PGM_RSRC2:USER_SGPR: 6
; COMPUTE_PGM_RSRC2:TRAP_HANDLER: 0
; COMPUTE_PGM_RSRC2:TGID_X_EN: 1
; COMPUTE_PGM_RSRC2:TGID_Y_EN: 0
; COMPUTE_PGM_RSRC2:TGID_Z_EN: 0
; COMPUTE_PGM_RSRC2:TIDIG_COMP_CNT: 2
	.section	.text._Z6kernelI9histogramILN6hipcub23BlockHistogramAlgorithmE1EEyLj256ELj8ELj256ELj100EEvPKT0_PS4_,"axG",@progbits,_Z6kernelI9histogramILN6hipcub23BlockHistogramAlgorithmE1EEyLj256ELj8ELj256ELj100EEvPKT0_PS4_,comdat
	.protected	_Z6kernelI9histogramILN6hipcub23BlockHistogramAlgorithmE1EEyLj256ELj8ELj256ELj100EEvPKT0_PS4_ ; -- Begin function _Z6kernelI9histogramILN6hipcub23BlockHistogramAlgorithmE1EEyLj256ELj8ELj256ELj100EEvPKT0_PS4_
	.globl	_Z6kernelI9histogramILN6hipcub23BlockHistogramAlgorithmE1EEyLj256ELj8ELj256ELj100EEvPKT0_PS4_
	.p2align	8
	.type	_Z6kernelI9histogramILN6hipcub23BlockHistogramAlgorithmE1EEyLj256ELj8ELj256ELj100EEvPKT0_PS4_,@function
_Z6kernelI9histogramILN6hipcub23BlockHistogramAlgorithmE1EEyLj256ELj8ELj256ELj100EEvPKT0_PS4_: ; @_Z6kernelI9histogramILN6hipcub23BlockHistogramAlgorithmE1EEyLj256ELj8ELj256ELj100EEvPKT0_PS4_
; %bb.0:
	s_load_dwordx4 s[36:39], s[4:5], 0x0
	s_load_dword s2, s[4:5], 0x1c
	v_lshlrev_b32_e32 v41, 3, v0
	v_mov_b32_e32 v19, 0
	v_lshl_or_b32 v3, s6, 11, v41
	v_mov_b32_e32 v4, v19
	v_lshlrev_b64 v[3:4], 3, v[3:4]
	s_waitcnt lgkmcnt(0)
	v_mov_b32_e32 v5, s37
	v_add_co_u32_e32 v20, vcc, s36, v3
	v_addc_co_u32_e32 v21, vcc, v5, v4, vcc
	global_load_dwordx4 v[3:6], v[20:21], off offset:48
	global_load_dwordx4 v[7:10], v[20:21], off offset:32
	;; [unrolled: 1-line block ×3, first 2 shown]
	global_load_dwordx4 v[15:18], v[20:21], off
	s_lshr_b32 s3, s2, 16
	v_mbcnt_lo_u32_b32 v20, -1, 0
	s_and_b32 s2, s2, 0xffff
	v_mad_u32_u24 v1, v2, s3, v1
	v_mbcnt_hi_u32_b32 v20, -1, v20
	v_mad_u64_u32 v[1:2], s[2:3], v1, s2, v[0:1]
	v_and_b32_e32 v2, 15, v20
	v_and_b32_e32 v21, 0xc0, v0
	v_cmp_eq_u32_e64 s[2:3], 0, v2
	v_cmp_lt_u32_e64 s[4:5], 1, v2
	v_cmp_lt_u32_e64 s[30:31], 3, v2
	;; [unrolled: 1-line block ×3, first 2 shown]
	v_and_b32_e32 v2, 16, v20
	v_cmp_eq_u32_e64 s[10:11], 0, v2
	v_or_b32_e32 v2, 63, v21
	v_add_lshl_u32 v42, v20, v21, 6
	v_cmp_eq_u32_e64 s[14:15], v0, v2
	v_subrev_co_u32_e64 v2, s[20:21], 1, v20
	v_and_b32_e32 v21, 64, v20
	v_cmp_lt_i32_e32 vcc, v2, v21
	v_cndmask_b32_e32 v2, v2, v20, vcc
	v_lshlrev_b32_e32 v44, 4, v0
	v_lshlrev_b32_e32 v45, 2, v2
	v_lshrrev_b32_e32 v2, 4, v0
	s_mov_b32 s36, 0
	v_lshlrev_b32_e32 v22, 6, v0
	v_and_b32_e32 v46, 12, v2
	v_mad_i32_i24 v47, v0, -12, v44
	v_and_b32_e32 v2, 3, v20
	v_and_b32_e32 v22, 0x3000, v22
	v_cmp_eq_u32_e64 s[26:27], 0, v2
	v_cmp_lt_u32_e64 s[28:29], 1, v2
	v_mad_u32_u24 v49, v0, 60, v47
	s_movk_i32 s7, 0xffc8
	v_lshlrev_b32_e32 v2, 2, v0
	s_mov_b32 s34, s36
	s_movk_i32 s0, 0x100
	v_lshl_or_b32 v43, v20, 3, v22
	v_mad_i32_i24 v50, v0, s7, v49
	v_sub_u32_e32 v2, 0, v2
	v_lshrrev_b32_e32 v1, 4, v1
	s_mov_b32 s37, s36
	s_mov_b32 s35, s36
	v_mov_b32_e32 v21, s36
	v_mov_b32_e32 v23, s34
	v_cmp_gt_u32_e64 s[0:1], s0, v0
	v_cmp_lt_u32_e64 s[12:13], 31, v20
	v_cmp_gt_u32_e64 s[16:17], 4, v0
	v_cmp_lt_u32_e64 s[18:19], 63, v0
	v_cmp_eq_u32_e64 s[22:23], 0, v0
	v_cmp_ne_u32_e64 s[24:25], 0, v0
	v_add_u32_e32 v48, -4, v46
	v_or_b32_e32 v51, 0x4000, v41
	v_or_b32_e32 v52, 7, v41
	;; [unrolled: 1-line block ×8, first 2 shown]
	v_add_u32_e32 v59, -8, v50
	v_and_b32_e32 v60, 0xffffffc, v1
	v_mov_b32_e32 v22, s37
	v_mov_b32_e32 v24, s35
	;; [unrolled: 1-line block ×3, first 2 shown]
	v_add_u32_e32 v62, v50, v2
	s_branch .LBB52_2
.LBB52_1:                               ;   in Loop: Header=BB52_2 Depth=1
	s_or_b64 exec, exec, s[34:35]
	s_waitcnt lgkmcnt(0)
	s_barrier
	ds_read2st64_b32 v[1:2], v62 offset0:16 offset1:20
	ds_read_b64 v[25:26], v51
	s_add_i32 s36, s36, 1
	s_cmpk_lg_i32 s36, 0x64
	s_waitcnt lgkmcnt(1)
	v_sub_u32_e32 v1, v2, v1
	s_waitcnt lgkmcnt(0)
	v_add_co_u32_e32 v1, vcc, v25, v1
	v_addc_co_u32_e32 v2, vcc, 0, v26, vcc
	ds_write_b64 v51, v[1:2]
	s_cbranch_scc0 .LBB52_49
.LBB52_2:                               ; =>This Loop Header: Depth=1
                                        ;     Child Loop BB52_6 Depth 2
	s_and_saveexec_b64 s[34:35], s[0:1]
; %bb.3:                                ;   in Loop: Header=BB52_2 Depth=1
	v_mov_b32_e32 v20, v19
	ds_write_b64 v51, v[19:20]
; %bb.4:                                ;   in Loop: Header=BB52_2 Depth=1
	s_or_b64 exec, exec, s[34:35]
	s_waitcnt vmcnt(0) lgkmcnt(0)
	s_barrier
	ds_write2_b64 v42, v[15:16], v[17:18] offset1:1
	ds_write2_b64 v42, v[11:12], v[13:14] offset0:2 offset1:3
	ds_write2_b64 v42, v[7:8], v[9:10] offset0:4 offset1:5
	;; [unrolled: 1-line block ×3, first 2 shown]
	; wave barrier
	ds_read2st64_b64 v[1:4], v43 offset1:1
	ds_read2st64_b64 v[5:8], v43 offset0:2 offset1:3
	ds_read2st64_b64 v[9:12], v43 offset0:4 offset1:5
	;; [unrolled: 1-line block ×3, first 2 shown]
	v_mov_b32_e32 v27, 0
	v_mov_b32_e32 v28, 0
	s_waitcnt lgkmcnt(0)
	s_barrier
	; wave barrier
	s_barrier
	s_branch .LBB52_6
.LBB52_5:                               ;   in Loop: Header=BB52_6 Depth=2
	s_andn2_b64 vcc, exec, s[34:35]
	s_cbranch_vccz .LBB52_30
.LBB52_6:                               ;   Parent Loop BB52_2 Depth=1
                                        ; =>  This Inner Loop Header: Depth=2
	v_mov_b32_e32 v40, v2
	v_mov_b32_e32 v39, v1
	v_lshrrev_b64 v[1:2], v27, v[39:40]
	v_mov_b32_e32 v36, v6
	v_lshlrev_b32_e32 v2, 4, v1
	v_and_b32_e32 v2, 0xff0, v2
	v_mov_b32_e32 v38, v4
	v_mov_b32_e32 v35, v5
	v_add_u32_e32 v5, v60, v2
	v_and_b32_e32 v2, 1, v1
	v_mov_b32_e32 v37, v3
	v_add_co_u32_e32 v3, vcc, -1, v2
	v_addc_co_u32_e64 v4, s[34:35], 0, -1, vcc
	v_cmp_ne_u32_e32 vcc, 0, v2
	v_lshlrev_b32_e32 v20, 30, v1
	v_xor_b32_e32 v2, vcc_hi, v4
	v_xor_b32_e32 v3, vcc_lo, v3
	v_cmp_gt_i64_e32 vcc, 0, v[19:20]
	v_not_b32_e32 v4, v20
	v_ashrrev_i32_e32 v4, 31, v4
	v_and_b32_e32 v3, exec_lo, v3
	v_xor_b32_e32 v6, vcc_hi, v4
	v_xor_b32_e32 v4, vcc_lo, v4
	v_lshlrev_b32_e32 v20, 29, v1
	v_and_b32_e32 v3, v3, v4
	v_cmp_gt_i64_e32 vcc, 0, v[19:20]
	v_not_b32_e32 v4, v20
	v_and_b32_e32 v2, exec_hi, v2
	v_ashrrev_i32_e32 v4, 31, v4
	v_and_b32_e32 v2, v2, v6
	v_xor_b32_e32 v6, vcc_hi, v4
	v_xor_b32_e32 v4, vcc_lo, v4
	v_lshlrev_b32_e32 v20, 28, v1
	v_and_b32_e32 v3, v3, v4
	v_cmp_gt_i64_e32 vcc, 0, v[19:20]
	v_not_b32_e32 v4, v20
	v_ashrrev_i32_e32 v4, 31, v4
	v_and_b32_e32 v2, v2, v6
	v_xor_b32_e32 v6, vcc_hi, v4
	v_xor_b32_e32 v4, vcc_lo, v4
	v_lshlrev_b32_e32 v20, 27, v1
	v_and_b32_e32 v3, v3, v4
	v_cmp_gt_i64_e32 vcc, 0, v[19:20]
	v_not_b32_e32 v4, v20
	;; [unrolled: 8-line block ×4, first 2 shown]
	v_ashrrev_i32_e32 v4, 31, v4
	v_lshlrev_b32_e32 v20, 24, v1
	v_and_b32_e32 v2, v2, v6
	v_xor_b32_e32 v6, vcc_hi, v4
	v_xor_b32_e32 v4, vcc_lo, v4
	v_cmp_gt_i64_e32 vcc, 0, v[19:20]
	v_not_b32_e32 v1, v20
	v_ashrrev_i32_e32 v1, 31, v1
	v_and_b32_e32 v3, v3, v4
	v_xor_b32_e32 v4, vcc_hi, v1
	v_xor_b32_e32 v1, vcc_lo, v1
	v_and_b32_e32 v2, v2, v6
	v_and_b32_e32 v1, v3, v1
	;; [unrolled: 1-line block ×3, first 2 shown]
	v_mbcnt_lo_u32_b32 v3, v1, 0
	v_mbcnt_hi_u32_b32 v6, v2, v3
	v_cmp_ne_u64_e32 vcc, 0, v[1:2]
	v_mov_b32_e32 v34, v8
	v_mov_b32_e32 v32, v10
	v_mov_b32_e32 v30, v12
	v_mov_b32_e32 v26, v14
	v_mov_b32_e32 v18, v16
	v_cmp_eq_u32_e64 s[34:35], 0, v6
	v_mov_b32_e32 v33, v7
	v_mov_b32_e32 v31, v9
	;; [unrolled: 1-line block ×5, first 2 shown]
	s_and_b64 s[40:41], vcc, s[34:35]
	ds_write2_b64 v44, v[21:22], v[23:24] offset0:2 offset1:3
	s_waitcnt lgkmcnt(0)
	s_barrier
	; wave barrier
	s_and_saveexec_b64 s[34:35], s[40:41]
; %bb.7:                                ;   in Loop: Header=BB52_6 Depth=2
	v_bcnt_u32_b32 v1, v1, 0
	v_bcnt_u32_b32 v1, v2, v1
	ds_write_b32 v5, v1 offset:16
; %bb.8:                                ;   in Loop: Header=BB52_6 Depth=2
	s_or_b64 exec, exec, s[34:35]
	v_lshrrev_b64 v[1:2], v27, v[37:38]
	v_lshlrev_b32_e32 v2, 4, v1
	v_and_b32_e32 v2, 0xff0, v2
	v_add_u32_e32 v8, v60, v2
	v_and_b32_e32 v2, 1, v1
	v_add_co_u32_e32 v3, vcc, -1, v2
	v_addc_co_u32_e64 v4, s[34:35], 0, -1, vcc
	v_cmp_ne_u32_e32 vcc, 0, v2
	v_lshlrev_b32_e32 v20, 30, v1
	v_xor_b32_e32 v2, vcc_hi, v4
	v_xor_b32_e32 v3, vcc_lo, v3
	v_cmp_gt_i64_e32 vcc, 0, v[19:20]
	v_not_b32_e32 v4, v20
	v_ashrrev_i32_e32 v4, 31, v4
	v_and_b32_e32 v3, exec_lo, v3
	v_xor_b32_e32 v9, vcc_hi, v4
	v_xor_b32_e32 v4, vcc_lo, v4
	v_lshlrev_b32_e32 v20, 29, v1
	v_and_b32_e32 v3, v3, v4
	v_cmp_gt_i64_e32 vcc, 0, v[19:20]
	v_not_b32_e32 v4, v20
	v_and_b32_e32 v2, exec_hi, v2
	v_ashrrev_i32_e32 v4, 31, v4
	v_and_b32_e32 v2, v2, v9
	v_xor_b32_e32 v9, vcc_hi, v4
	v_xor_b32_e32 v4, vcc_lo, v4
	v_lshlrev_b32_e32 v20, 28, v1
	v_and_b32_e32 v3, v3, v4
	v_cmp_gt_i64_e32 vcc, 0, v[19:20]
	v_not_b32_e32 v4, v20
	v_ashrrev_i32_e32 v4, 31, v4
	v_and_b32_e32 v2, v2, v9
	v_xor_b32_e32 v9, vcc_hi, v4
	v_xor_b32_e32 v4, vcc_lo, v4
	v_lshlrev_b32_e32 v20, 27, v1
	v_and_b32_e32 v3, v3, v4
	v_cmp_gt_i64_e32 vcc, 0, v[19:20]
	v_not_b32_e32 v4, v20
	;; [unrolled: 8-line block ×4, first 2 shown]
	v_ashrrev_i32_e32 v4, 31, v4
	v_lshlrev_b32_e32 v20, 24, v1
	v_and_b32_e32 v2, v2, v9
	v_xor_b32_e32 v9, vcc_hi, v4
	v_xor_b32_e32 v4, vcc_lo, v4
	v_cmp_gt_i64_e32 vcc, 0, v[19:20]
	v_not_b32_e32 v1, v20
	v_ashrrev_i32_e32 v1, 31, v1
	v_and_b32_e32 v3, v3, v4
	v_xor_b32_e32 v4, vcc_hi, v1
	v_xor_b32_e32 v1, vcc_lo, v1
	; wave barrier
	ds_read_b32 v7, v8 offset:16
	v_and_b32_e32 v2, v2, v9
	v_and_b32_e32 v1, v3, v1
	;; [unrolled: 1-line block ×3, first 2 shown]
	v_mbcnt_lo_u32_b32 v3, v1, 0
	v_mbcnt_hi_u32_b32 v9, v2, v3
	v_cmp_ne_u64_e32 vcc, 0, v[1:2]
	v_cmp_eq_u32_e64 s[34:35], 0, v9
	s_and_b64 s[40:41], vcc, s[34:35]
	; wave barrier
	s_and_saveexec_b64 s[34:35], s[40:41]
	s_cbranch_execz .LBB52_10
; %bb.9:                                ;   in Loop: Header=BB52_6 Depth=2
	v_bcnt_u32_b32 v1, v1, 0
	v_bcnt_u32_b32 v1, v2, v1
	s_waitcnt lgkmcnt(0)
	v_add_u32_e32 v1, v7, v1
	ds_write_b32 v8, v1 offset:16
.LBB52_10:                              ;   in Loop: Header=BB52_6 Depth=2
	s_or_b64 exec, exec, s[34:35]
	v_lshrrev_b64 v[1:2], v27, v[35:36]
	v_lshlrev_b32_e32 v2, 4, v1
	v_and_b32_e32 v2, 0xff0, v2
	v_add_u32_e32 v11, v60, v2
	v_and_b32_e32 v2, 1, v1
	v_add_co_u32_e32 v3, vcc, -1, v2
	v_addc_co_u32_e64 v4, s[34:35], 0, -1, vcc
	v_cmp_ne_u32_e32 vcc, 0, v2
	v_lshlrev_b32_e32 v20, 30, v1
	v_xor_b32_e32 v2, vcc_hi, v4
	v_xor_b32_e32 v3, vcc_lo, v3
	v_cmp_gt_i64_e32 vcc, 0, v[19:20]
	v_not_b32_e32 v4, v20
	v_ashrrev_i32_e32 v4, 31, v4
	v_and_b32_e32 v3, exec_lo, v3
	v_xor_b32_e32 v12, vcc_hi, v4
	v_xor_b32_e32 v4, vcc_lo, v4
	v_lshlrev_b32_e32 v20, 29, v1
	v_and_b32_e32 v3, v3, v4
	v_cmp_gt_i64_e32 vcc, 0, v[19:20]
	v_not_b32_e32 v4, v20
	v_and_b32_e32 v2, exec_hi, v2
	v_ashrrev_i32_e32 v4, 31, v4
	v_and_b32_e32 v2, v2, v12
	v_xor_b32_e32 v12, vcc_hi, v4
	v_xor_b32_e32 v4, vcc_lo, v4
	v_lshlrev_b32_e32 v20, 28, v1
	v_and_b32_e32 v3, v3, v4
	v_cmp_gt_i64_e32 vcc, 0, v[19:20]
	v_not_b32_e32 v4, v20
	v_ashrrev_i32_e32 v4, 31, v4
	v_and_b32_e32 v2, v2, v12
	v_xor_b32_e32 v12, vcc_hi, v4
	v_xor_b32_e32 v4, vcc_lo, v4
	v_lshlrev_b32_e32 v20, 27, v1
	v_and_b32_e32 v3, v3, v4
	v_cmp_gt_i64_e32 vcc, 0, v[19:20]
	v_not_b32_e32 v4, v20
	;; [unrolled: 8-line block ×4, first 2 shown]
	v_ashrrev_i32_e32 v4, 31, v4
	v_lshlrev_b32_e32 v20, 24, v1
	v_and_b32_e32 v2, v2, v12
	v_xor_b32_e32 v12, vcc_hi, v4
	v_xor_b32_e32 v4, vcc_lo, v4
	v_cmp_gt_i64_e32 vcc, 0, v[19:20]
	v_not_b32_e32 v1, v20
	v_ashrrev_i32_e32 v1, 31, v1
	v_and_b32_e32 v3, v3, v4
	v_xor_b32_e32 v4, vcc_hi, v1
	v_xor_b32_e32 v1, vcc_lo, v1
	; wave barrier
	ds_read_b32 v10, v11 offset:16
	v_and_b32_e32 v2, v2, v12
	v_and_b32_e32 v1, v3, v1
	;; [unrolled: 1-line block ×3, first 2 shown]
	v_mbcnt_lo_u32_b32 v3, v1, 0
	v_mbcnt_hi_u32_b32 v12, v2, v3
	v_cmp_ne_u64_e32 vcc, 0, v[1:2]
	v_cmp_eq_u32_e64 s[34:35], 0, v12
	s_and_b64 s[40:41], vcc, s[34:35]
	; wave barrier
	s_and_saveexec_b64 s[34:35], s[40:41]
	s_cbranch_execz .LBB52_12
; %bb.11:                               ;   in Loop: Header=BB52_6 Depth=2
	v_bcnt_u32_b32 v1, v1, 0
	v_bcnt_u32_b32 v1, v2, v1
	s_waitcnt lgkmcnt(0)
	v_add_u32_e32 v1, v10, v1
	ds_write_b32 v11, v1 offset:16
.LBB52_12:                              ;   in Loop: Header=BB52_6 Depth=2
	s_or_b64 exec, exec, s[34:35]
	v_lshrrev_b64 v[1:2], v27, v[33:34]
	v_lshlrev_b32_e32 v2, 4, v1
	v_and_b32_e32 v2, 0xff0, v2
	v_add_u32_e32 v14, v60, v2
	v_and_b32_e32 v2, 1, v1
	v_add_co_u32_e32 v3, vcc, -1, v2
	v_addc_co_u32_e64 v4, s[34:35], 0, -1, vcc
	v_cmp_ne_u32_e32 vcc, 0, v2
	v_lshlrev_b32_e32 v20, 30, v1
	v_xor_b32_e32 v2, vcc_hi, v4
	v_xor_b32_e32 v3, vcc_lo, v3
	v_cmp_gt_i64_e32 vcc, 0, v[19:20]
	v_not_b32_e32 v4, v20
	v_ashrrev_i32_e32 v4, 31, v4
	v_and_b32_e32 v3, exec_lo, v3
	v_xor_b32_e32 v15, vcc_hi, v4
	v_xor_b32_e32 v4, vcc_lo, v4
	v_lshlrev_b32_e32 v20, 29, v1
	v_and_b32_e32 v3, v3, v4
	v_cmp_gt_i64_e32 vcc, 0, v[19:20]
	v_not_b32_e32 v4, v20
	v_and_b32_e32 v2, exec_hi, v2
	v_ashrrev_i32_e32 v4, 31, v4
	v_and_b32_e32 v2, v2, v15
	v_xor_b32_e32 v15, vcc_hi, v4
	v_xor_b32_e32 v4, vcc_lo, v4
	v_lshlrev_b32_e32 v20, 28, v1
	v_and_b32_e32 v3, v3, v4
	v_cmp_gt_i64_e32 vcc, 0, v[19:20]
	v_not_b32_e32 v4, v20
	v_ashrrev_i32_e32 v4, 31, v4
	v_and_b32_e32 v2, v2, v15
	v_xor_b32_e32 v15, vcc_hi, v4
	v_xor_b32_e32 v4, vcc_lo, v4
	v_lshlrev_b32_e32 v20, 27, v1
	v_and_b32_e32 v3, v3, v4
	v_cmp_gt_i64_e32 vcc, 0, v[19:20]
	v_not_b32_e32 v4, v20
	;; [unrolled: 8-line block ×4, first 2 shown]
	v_ashrrev_i32_e32 v4, 31, v4
	v_lshlrev_b32_e32 v20, 24, v1
	v_and_b32_e32 v2, v2, v15
	v_xor_b32_e32 v15, vcc_hi, v4
	v_xor_b32_e32 v4, vcc_lo, v4
	v_cmp_gt_i64_e32 vcc, 0, v[19:20]
	v_not_b32_e32 v1, v20
	v_ashrrev_i32_e32 v1, 31, v1
	v_and_b32_e32 v3, v3, v4
	v_xor_b32_e32 v4, vcc_hi, v1
	v_xor_b32_e32 v1, vcc_lo, v1
	; wave barrier
	ds_read_b32 v13, v14 offset:16
	v_and_b32_e32 v2, v2, v15
	v_and_b32_e32 v1, v3, v1
	;; [unrolled: 1-line block ×3, first 2 shown]
	v_mbcnt_lo_u32_b32 v3, v1, 0
	v_mbcnt_hi_u32_b32 v15, v2, v3
	v_cmp_ne_u64_e32 vcc, 0, v[1:2]
	v_cmp_eq_u32_e64 s[34:35], 0, v15
	s_and_b64 s[40:41], vcc, s[34:35]
	; wave barrier
	s_and_saveexec_b64 s[34:35], s[40:41]
	s_cbranch_execz .LBB52_14
; %bb.13:                               ;   in Loop: Header=BB52_6 Depth=2
	v_bcnt_u32_b32 v1, v1, 0
	v_bcnt_u32_b32 v1, v2, v1
	s_waitcnt lgkmcnt(0)
	v_add_u32_e32 v1, v13, v1
	ds_write_b32 v14, v1 offset:16
.LBB52_14:                              ;   in Loop: Header=BB52_6 Depth=2
	s_or_b64 exec, exec, s[34:35]
	v_lshrrev_b64 v[1:2], v27, v[31:32]
	v_lshlrev_b32_e32 v2, 4, v1
	v_and_b32_e32 v2, 0xff0, v2
	v_add_u32_e32 v63, v60, v2
	v_and_b32_e32 v2, 1, v1
	v_add_co_u32_e32 v3, vcc, -1, v2
	v_addc_co_u32_e64 v4, s[34:35], 0, -1, vcc
	v_cmp_ne_u32_e32 vcc, 0, v2
	v_lshlrev_b32_e32 v20, 30, v1
	v_xor_b32_e32 v2, vcc_hi, v4
	v_xor_b32_e32 v3, vcc_lo, v3
	v_cmp_gt_i64_e32 vcc, 0, v[19:20]
	v_not_b32_e32 v4, v20
	v_ashrrev_i32_e32 v4, 31, v4
	v_and_b32_e32 v2, exec_hi, v2
	v_xor_b32_e32 v20, vcc_hi, v4
	v_and_b32_e32 v3, exec_lo, v3
	v_xor_b32_e32 v4, vcc_lo, v4
	v_and_b32_e32 v2, v2, v20
	v_lshlrev_b32_e32 v20, 29, v1
	v_and_b32_e32 v3, v3, v4
	v_cmp_gt_i64_e32 vcc, 0, v[19:20]
	v_not_b32_e32 v4, v20
	v_ashrrev_i32_e32 v4, 31, v4
	v_xor_b32_e32 v20, vcc_hi, v4
	v_xor_b32_e32 v4, vcc_lo, v4
	v_and_b32_e32 v2, v2, v20
	v_lshlrev_b32_e32 v20, 28, v1
	v_and_b32_e32 v3, v3, v4
	v_cmp_gt_i64_e32 vcc, 0, v[19:20]
	v_not_b32_e32 v4, v20
	v_ashrrev_i32_e32 v4, 31, v4
	v_xor_b32_e32 v20, vcc_hi, v4
	;; [unrolled: 8-line block ×5, first 2 shown]
	v_and_b32_e32 v2, v2, v20
	v_lshlrev_b32_e32 v20, 24, v1
	v_xor_b32_e32 v4, vcc_lo, v4
	v_cmp_gt_i64_e32 vcc, 0, v[19:20]
	v_not_b32_e32 v1, v20
	v_ashrrev_i32_e32 v1, 31, v1
	v_and_b32_e32 v3, v3, v4
	v_xor_b32_e32 v4, vcc_hi, v1
	v_xor_b32_e32 v1, vcc_lo, v1
	; wave barrier
	ds_read_b32 v16, v63 offset:16
	v_and_b32_e32 v1, v3, v1
	v_and_b32_e32 v2, v2, v4
	v_mbcnt_lo_u32_b32 v3, v1, 0
	v_mbcnt_hi_u32_b32 v64, v2, v3
	v_cmp_ne_u64_e32 vcc, 0, v[1:2]
	v_cmp_eq_u32_e64 s[34:35], 0, v64
	s_and_b64 s[40:41], vcc, s[34:35]
	; wave barrier
	s_and_saveexec_b64 s[34:35], s[40:41]
	s_cbranch_execz .LBB52_16
; %bb.15:                               ;   in Loop: Header=BB52_6 Depth=2
	v_bcnt_u32_b32 v1, v1, 0
	v_bcnt_u32_b32 v1, v2, v1
	s_waitcnt lgkmcnt(0)
	v_add_u32_e32 v1, v16, v1
	ds_write_b32 v63, v1 offset:16
.LBB52_16:                              ;   in Loop: Header=BB52_6 Depth=2
	s_or_b64 exec, exec, s[34:35]
	v_lshrrev_b64 v[1:2], v27, v[29:30]
	v_lshlrev_b32_e32 v2, 4, v1
	v_and_b32_e32 v2, 0xff0, v2
	v_add_u32_e32 v66, v60, v2
	v_and_b32_e32 v2, 1, v1
	v_add_co_u32_e32 v3, vcc, -1, v2
	v_addc_co_u32_e64 v4, s[34:35], 0, -1, vcc
	v_cmp_ne_u32_e32 vcc, 0, v2
	v_lshlrev_b32_e32 v20, 30, v1
	v_xor_b32_e32 v2, vcc_hi, v4
	v_xor_b32_e32 v3, vcc_lo, v3
	v_cmp_gt_i64_e32 vcc, 0, v[19:20]
	v_not_b32_e32 v4, v20
	v_ashrrev_i32_e32 v4, 31, v4
	v_and_b32_e32 v2, exec_hi, v2
	v_xor_b32_e32 v20, vcc_hi, v4
	v_and_b32_e32 v3, exec_lo, v3
	v_xor_b32_e32 v4, vcc_lo, v4
	v_and_b32_e32 v2, v2, v20
	v_lshlrev_b32_e32 v20, 29, v1
	v_and_b32_e32 v3, v3, v4
	v_cmp_gt_i64_e32 vcc, 0, v[19:20]
	v_not_b32_e32 v4, v20
	v_ashrrev_i32_e32 v4, 31, v4
	v_xor_b32_e32 v20, vcc_hi, v4
	v_xor_b32_e32 v4, vcc_lo, v4
	v_and_b32_e32 v2, v2, v20
	v_lshlrev_b32_e32 v20, 28, v1
	v_and_b32_e32 v3, v3, v4
	v_cmp_gt_i64_e32 vcc, 0, v[19:20]
	v_not_b32_e32 v4, v20
	v_ashrrev_i32_e32 v4, 31, v4
	v_xor_b32_e32 v20, vcc_hi, v4
	;; [unrolled: 8-line block ×5, first 2 shown]
	v_and_b32_e32 v2, v2, v20
	v_lshlrev_b32_e32 v20, 24, v1
	v_xor_b32_e32 v4, vcc_lo, v4
	v_cmp_gt_i64_e32 vcc, 0, v[19:20]
	v_not_b32_e32 v1, v20
	v_ashrrev_i32_e32 v1, 31, v1
	v_and_b32_e32 v3, v3, v4
	v_xor_b32_e32 v4, vcc_hi, v1
	v_xor_b32_e32 v1, vcc_lo, v1
	; wave barrier
	ds_read_b32 v65, v66 offset:16
	v_and_b32_e32 v1, v3, v1
	v_and_b32_e32 v2, v2, v4
	v_mbcnt_lo_u32_b32 v3, v1, 0
	v_mbcnt_hi_u32_b32 v67, v2, v3
	v_cmp_ne_u64_e32 vcc, 0, v[1:2]
	v_cmp_eq_u32_e64 s[34:35], 0, v67
	s_and_b64 s[40:41], vcc, s[34:35]
	; wave barrier
	s_and_saveexec_b64 s[34:35], s[40:41]
	s_cbranch_execz .LBB52_18
; %bb.17:                               ;   in Loop: Header=BB52_6 Depth=2
	v_bcnt_u32_b32 v1, v1, 0
	v_bcnt_u32_b32 v1, v2, v1
	s_waitcnt lgkmcnt(0)
	v_add_u32_e32 v1, v65, v1
	ds_write_b32 v66, v1 offset:16
.LBB52_18:                              ;   in Loop: Header=BB52_6 Depth=2
	s_or_b64 exec, exec, s[34:35]
	v_lshrrev_b64 v[1:2], v27, v[25:26]
	v_lshlrev_b32_e32 v2, 4, v1
	v_and_b32_e32 v2, 0xff0, v2
	v_add_u32_e32 v69, v60, v2
	v_and_b32_e32 v2, 1, v1
	v_add_co_u32_e32 v3, vcc, -1, v2
	v_addc_co_u32_e64 v4, s[34:35], 0, -1, vcc
	v_cmp_ne_u32_e32 vcc, 0, v2
	v_lshlrev_b32_e32 v20, 30, v1
	v_xor_b32_e32 v2, vcc_hi, v4
	v_xor_b32_e32 v3, vcc_lo, v3
	v_cmp_gt_i64_e32 vcc, 0, v[19:20]
	v_not_b32_e32 v4, v20
	v_ashrrev_i32_e32 v4, 31, v4
	v_and_b32_e32 v2, exec_hi, v2
	v_xor_b32_e32 v20, vcc_hi, v4
	v_and_b32_e32 v3, exec_lo, v3
	v_xor_b32_e32 v4, vcc_lo, v4
	v_and_b32_e32 v2, v2, v20
	v_lshlrev_b32_e32 v20, 29, v1
	v_and_b32_e32 v3, v3, v4
	v_cmp_gt_i64_e32 vcc, 0, v[19:20]
	v_not_b32_e32 v4, v20
	v_ashrrev_i32_e32 v4, 31, v4
	v_xor_b32_e32 v20, vcc_hi, v4
	v_xor_b32_e32 v4, vcc_lo, v4
	v_and_b32_e32 v2, v2, v20
	v_lshlrev_b32_e32 v20, 28, v1
	v_and_b32_e32 v3, v3, v4
	v_cmp_gt_i64_e32 vcc, 0, v[19:20]
	v_not_b32_e32 v4, v20
	v_ashrrev_i32_e32 v4, 31, v4
	v_xor_b32_e32 v20, vcc_hi, v4
	;; [unrolled: 8-line block ×5, first 2 shown]
	v_and_b32_e32 v2, v2, v20
	v_lshlrev_b32_e32 v20, 24, v1
	v_xor_b32_e32 v4, vcc_lo, v4
	v_cmp_gt_i64_e32 vcc, 0, v[19:20]
	v_not_b32_e32 v1, v20
	v_ashrrev_i32_e32 v1, 31, v1
	v_and_b32_e32 v3, v3, v4
	v_xor_b32_e32 v4, vcc_hi, v1
	v_xor_b32_e32 v1, vcc_lo, v1
	; wave barrier
	ds_read_b32 v68, v69 offset:16
	v_and_b32_e32 v1, v3, v1
	v_and_b32_e32 v2, v2, v4
	v_mbcnt_lo_u32_b32 v3, v1, 0
	v_mbcnt_hi_u32_b32 v70, v2, v3
	v_cmp_ne_u64_e32 vcc, 0, v[1:2]
	v_cmp_eq_u32_e64 s[34:35], 0, v70
	s_and_b64 s[40:41], vcc, s[34:35]
	; wave barrier
	s_and_saveexec_b64 s[34:35], s[40:41]
	s_cbranch_execz .LBB52_20
; %bb.19:                               ;   in Loop: Header=BB52_6 Depth=2
	v_bcnt_u32_b32 v1, v1, 0
	v_bcnt_u32_b32 v1, v2, v1
	s_waitcnt lgkmcnt(0)
	v_add_u32_e32 v1, v68, v1
	ds_write_b32 v69, v1 offset:16
.LBB52_20:                              ;   in Loop: Header=BB52_6 Depth=2
	s_or_b64 exec, exec, s[34:35]
	v_lshrrev_b64 v[1:2], v27, v[17:18]
	v_lshlrev_b32_e32 v2, 4, v1
	v_and_b32_e32 v2, 0xff0, v2
	v_add_u32_e32 v72, v60, v2
	v_and_b32_e32 v2, 1, v1
	v_add_co_u32_e32 v3, vcc, -1, v2
	v_addc_co_u32_e64 v4, s[34:35], 0, -1, vcc
	v_cmp_ne_u32_e32 vcc, 0, v2
	v_lshlrev_b32_e32 v20, 30, v1
	v_xor_b32_e32 v2, vcc_hi, v4
	v_xor_b32_e32 v3, vcc_lo, v3
	v_cmp_gt_i64_e32 vcc, 0, v[19:20]
	v_not_b32_e32 v4, v20
	v_ashrrev_i32_e32 v4, 31, v4
	v_and_b32_e32 v2, exec_hi, v2
	v_xor_b32_e32 v20, vcc_hi, v4
	v_and_b32_e32 v3, exec_lo, v3
	v_xor_b32_e32 v4, vcc_lo, v4
	v_and_b32_e32 v2, v2, v20
	v_lshlrev_b32_e32 v20, 29, v1
	v_and_b32_e32 v3, v3, v4
	v_cmp_gt_i64_e32 vcc, 0, v[19:20]
	v_not_b32_e32 v4, v20
	v_ashrrev_i32_e32 v4, 31, v4
	v_xor_b32_e32 v20, vcc_hi, v4
	v_xor_b32_e32 v4, vcc_lo, v4
	v_and_b32_e32 v2, v2, v20
	v_lshlrev_b32_e32 v20, 28, v1
	v_and_b32_e32 v3, v3, v4
	v_cmp_gt_i64_e32 vcc, 0, v[19:20]
	v_not_b32_e32 v4, v20
	v_ashrrev_i32_e32 v4, 31, v4
	v_xor_b32_e32 v20, vcc_hi, v4
	;; [unrolled: 8-line block ×5, first 2 shown]
	v_and_b32_e32 v2, v2, v20
	v_lshlrev_b32_e32 v20, 24, v1
	v_xor_b32_e32 v4, vcc_lo, v4
	v_cmp_gt_i64_e32 vcc, 0, v[19:20]
	v_not_b32_e32 v1, v20
	v_ashrrev_i32_e32 v1, 31, v1
	v_and_b32_e32 v3, v3, v4
	v_xor_b32_e32 v4, vcc_hi, v1
	v_xor_b32_e32 v1, vcc_lo, v1
	; wave barrier
	ds_read_b32 v71, v72 offset:16
	v_and_b32_e32 v1, v3, v1
	v_and_b32_e32 v2, v2, v4
	v_mbcnt_lo_u32_b32 v3, v1, 0
	v_mbcnt_hi_u32_b32 v20, v2, v3
	v_cmp_ne_u64_e32 vcc, 0, v[1:2]
	v_cmp_eq_u32_e64 s[34:35], 0, v20
	s_and_b64 s[40:41], vcc, s[34:35]
	; wave barrier
	s_and_saveexec_b64 s[34:35], s[40:41]
	s_cbranch_execz .LBB52_22
; %bb.21:                               ;   in Loop: Header=BB52_6 Depth=2
	v_bcnt_u32_b32 v1, v1, 0
	v_bcnt_u32_b32 v1, v2, v1
	s_waitcnt lgkmcnt(0)
	v_add_u32_e32 v1, v71, v1
	ds_write_b32 v72, v1 offset:16
.LBB52_22:                              ;   in Loop: Header=BB52_6 Depth=2
	s_or_b64 exec, exec, s[34:35]
	; wave barrier
	s_waitcnt lgkmcnt(0)
	s_barrier
	ds_read2_b64 v[1:4], v44 offset0:2 offset1:3
	s_waitcnt lgkmcnt(0)
	v_add_u32_e32 v73, v2, v1
	v_add3_u32 v4, v73, v3, v4
	s_nop 1
	v_mov_b32_dpp v73, v4 row_shr:1 row_mask:0xf bank_mask:0xf
	v_cndmask_b32_e64 v73, v73, 0, s[2:3]
	v_add_u32_e32 v4, v73, v4
	s_nop 1
	v_mov_b32_dpp v73, v4 row_shr:2 row_mask:0xf bank_mask:0xf
	v_cndmask_b32_e64 v73, 0, v73, s[4:5]
	v_add_u32_e32 v4, v4, v73
	;; [unrolled: 4-line block ×4, first 2 shown]
	s_nop 1
	v_mov_b32_dpp v73, v4 row_bcast:15 row_mask:0xf bank_mask:0xf
	v_cndmask_b32_e64 v73, v73, 0, s[10:11]
	v_add_u32_e32 v4, v4, v73
	s_nop 1
	v_mov_b32_dpp v73, v4 row_bcast:31 row_mask:0xf bank_mask:0xf
	v_cndmask_b32_e64 v73, 0, v73, s[12:13]
	v_add_u32_e32 v4, v4, v73
	s_and_saveexec_b64 s[34:35], s[14:15]
; %bb.23:                               ;   in Loop: Header=BB52_6 Depth=2
	ds_write_b32 v46, v4
; %bb.24:                               ;   in Loop: Header=BB52_6 Depth=2
	s_or_b64 exec, exec, s[34:35]
	s_waitcnt lgkmcnt(0)
	s_barrier
	s_and_saveexec_b64 s[34:35], s[16:17]
	s_cbranch_execz .LBB52_26
; %bb.25:                               ;   in Loop: Header=BB52_6 Depth=2
	ds_read_b32 v73, v47
	s_waitcnt lgkmcnt(0)
	s_nop 0
	v_mov_b32_dpp v74, v73 row_shr:1 row_mask:0xf bank_mask:0xf
	v_cndmask_b32_e64 v74, v74, 0, s[26:27]
	v_add_u32_e32 v73, v74, v73
	s_nop 1
	v_mov_b32_dpp v74, v73 row_shr:2 row_mask:0xf bank_mask:0xf
	v_cndmask_b32_e64 v74, 0, v74, s[28:29]
	v_add_u32_e32 v73, v73, v74
	ds_write_b32 v47, v73
.LBB52_26:                              ;   in Loop: Header=BB52_6 Depth=2
	s_or_b64 exec, exec, s[34:35]
	v_mov_b32_e32 v73, 0
	s_waitcnt lgkmcnt(0)
	s_barrier
	s_and_saveexec_b64 s[34:35], s[18:19]
; %bb.27:                               ;   in Loop: Header=BB52_6 Depth=2
	ds_read_b32 v73, v48
; %bb.28:                               ;   in Loop: Header=BB52_6 Depth=2
	s_or_b64 exec, exec, s[34:35]
	s_waitcnt lgkmcnt(0)
	v_add_u32_e32 v4, v73, v4
	ds_bpermute_b32 v4, v45, v4
	v_cmp_lt_u32_e32 vcc, 55, v27
	s_and_b64 vcc, exec, vcc
	s_mov_b64 s[34:35], -1
	s_waitcnt lgkmcnt(0)
	v_cndmask_b32_e64 v4, v4, v73, s[20:21]
	v_cndmask_b32_e64 v73, v4, 0, s[22:23]
	v_add_u32_e32 v74, v73, v1
	v_add_u32_e32 v1, v74, v2
	;; [unrolled: 1-line block ×3, first 2 shown]
	ds_write2_b64 v44, v[73:74], v[1:2] offset0:2 offset1:3
	s_waitcnt lgkmcnt(0)
	s_barrier
	ds_read_b32 v1, v5 offset:16
	ds_read_b32 v2, v8 offset:16
	;; [unrolled: 1-line block ×8, first 2 shown]
	s_waitcnt lgkmcnt(7)
	v_add_u32_e32 v74, v1, v6
	s_waitcnt lgkmcnt(6)
	v_add3_u32 v73, v9, v7, v2
	s_waitcnt lgkmcnt(5)
	v_add3_u32 v72, v12, v10, v3
	;; [unrolled: 2-line block ×7, first 2 shown]
                                        ; implicit-def: $vgpr1_vgpr2
                                        ; implicit-def: $vgpr5_vgpr6
                                        ; implicit-def: $vgpr9_vgpr10
                                        ; implicit-def: $vgpr13_vgpr14
	s_cbranch_vccnz .LBB52_5
; %bb.29:                               ;   in Loop: Header=BB52_6 Depth=2
	v_lshlrev_b32_e32 v1, 3, v74
	s_barrier
	ds_write_b64 v1, v[39:40]
	v_lshlrev_b32_e32 v1, 3, v73
	ds_write_b64 v1, v[37:38]
	v_lshlrev_b32_e32 v1, 3, v72
	;; [unrolled: 2-line block ×7, first 2 shown]
	ds_write_b64 v1, v[17:18]
	s_waitcnt lgkmcnt(0)
	s_barrier
	ds_read2st64_b64 v[1:4], v43 offset1:1
	ds_read2st64_b64 v[5:8], v43 offset0:2 offset1:3
	ds_read2st64_b64 v[9:12], v43 offset0:4 offset1:5
	;; [unrolled: 1-line block ×3, first 2 shown]
	v_add_co_u32_e32 v27, vcc, 8, v27
	v_addc_co_u32_e32 v28, vcc, 0, v28, vcc
	s_mov_b64 s[34:35], 0
	s_waitcnt lgkmcnt(0)
	s_barrier
	s_branch .LBB52_5
.LBB52_30:                              ;   in Loop: Header=BB52_2 Depth=1
	v_lshlrev_b32_e32 v1, 3, v74
	s_barrier
	ds_write_b64 v1, v[39:40]
	v_lshlrev_b32_e32 v1, 3, v73
	ds_write_b64 v1, v[37:38]
	v_lshlrev_b32_e32 v1, 3, v72
	;; [unrolled: 2-line block ×7, first 2 shown]
	ds_write_b64 v1, v[17:18]
	s_waitcnt lgkmcnt(0)
	s_barrier
	ds_read2_b64 v[3:6], v49 offset0:6 offset1:7
	ds_read2_b64 v[7:10], v49 offset0:4 offset1:5
	ds_read2_b64 v[15:18], v49 offset1:1
	ds_read2_b64 v[11:14], v49 offset0:2 offset1:3
	s_waitcnt lgkmcnt(0)
	v_mov_b32_e32 v1, v3
	v_cmp_ne_u32_e32 vcc, v3, v5
	v_lshlrev_b32_e32 v2, 2, v3
	s_barrier
	ds_write2st64_b32 v62, v61, v61 offset0:16 offset1:20
	s_waitcnt lgkmcnt(0)
	s_barrier
	ds_write_b64 v50, v[5:6]
	s_and_saveexec_b64 s[34:35], vcc
	s_cbranch_execz .LBB52_32
; %bb.31:                               ;   in Loop: Header=BB52_2 Depth=1
	v_lshlrev_b32_e32 v20, 2, v5
	ds_write_b32 v20, v52 offset:4096
	ds_write_b32 v2, v52 offset:5120
.LBB52_32:                              ;   in Loop: Header=BB52_2 Depth=1
	s_or_b64 exec, exec, s[34:35]
	v_cmp_ne_u32_e32 vcc, v3, v9
	v_lshlrev_b32_e32 v20, 2, v9
	s_and_saveexec_b64 s[34:35], vcc
	s_cbranch_execz .LBB52_34
; %bb.33:                               ;   in Loop: Header=BB52_2 Depth=1
	v_mov_b32_e32 v1, v9
	ds_write_b32 v2, v53 offset:4096
	ds_write_b32 v20, v53 offset:5120
.LBB52_34:                              ;   in Loop: Header=BB52_2 Depth=1
	s_or_b64 exec, exec, s[34:35]
	v_cmp_ne_u32_e32 vcc, v1, v7
	v_lshlrev_b32_e32 v2, 2, v7
	s_and_saveexec_b64 s[34:35], vcc
	s_cbranch_execz .LBB52_36
; %bb.35:                               ;   in Loop: Header=BB52_2 Depth=1
	v_mov_b32_e32 v1, v7
	ds_write_b32 v20, v54 offset:4096
	ds_write_b32 v2, v54 offset:5120
.LBB52_36:                              ;   in Loop: Header=BB52_2 Depth=1
	;; [unrolled: 10-line block ×5, first 2 shown]
	s_or_b64 exec, exec, s[34:35]
	v_cmp_ne_u32_e32 vcc, v1, v15
	v_lshlrev_b32_e32 v1, 2, v15
	s_and_saveexec_b64 s[34:35], vcc
	s_cbranch_execz .LBB52_44
; %bb.43:                               ;   in Loop: Header=BB52_2 Depth=1
	ds_write_b32 v20, v58 offset:4096
	ds_write_b32 v1, v58 offset:5120
.LBB52_44:                              ;   in Loop: Header=BB52_2 Depth=1
	s_or_b64 exec, exec, s[34:35]
	s_waitcnt lgkmcnt(0)
	s_barrier
	s_and_saveexec_b64 s[34:35], s[24:25]
	s_cbranch_execz .LBB52_47
; %bb.45:                               ;   in Loop: Header=BB52_2 Depth=1
	ds_read_b32 v2, v59
	s_waitcnt lgkmcnt(0)
	v_cmp_ne_u32_e32 vcc, v2, v15
	s_and_b64 exec, exec, vcc
	s_cbranch_execz .LBB52_47
; %bb.46:                               ;   in Loop: Header=BB52_2 Depth=1
	ds_write_b32 v1, v41 offset:4096
	ds_read_b32 v2, v59
	s_waitcnt lgkmcnt(0)
	v_lshlrev_b32_e32 v2, 2, v2
	ds_write_b32 v2, v41 offset:5120
.LBB52_47:                              ;   in Loop: Header=BB52_2 Depth=1
	s_or_b64 exec, exec, s[34:35]
	s_waitcnt lgkmcnt(0)
	s_barrier
	s_and_saveexec_b64 s[34:35], s[22:23]
	s_cbranch_execz .LBB52_1
; %bb.48:                               ;   in Loop: Header=BB52_2 Depth=1
	ds_write_b32 v1, v19 offset:4096
	s_branch .LBB52_1
.LBB52_49:
	v_lshl_or_b32 v3, s6, 8, v0
	v_mov_b32_e32 v4, 0
	v_lshlrev_b64 v[3:4], 3, v[3:4]
	v_mov_b32_e32 v0, s39
	v_add_co_u32_e32 v3, vcc, s38, v3
	v_addc_co_u32_e32 v4, vcc, v0, v4, vcc
	global_store_dwordx2 v[3:4], v[1:2], off
	s_endpgm
	.section	.rodata,"a",@progbits
	.p2align	6, 0x0
	.amdhsa_kernel _Z6kernelI9histogramILN6hipcub23BlockHistogramAlgorithmE1EEyLj256ELj8ELj256ELj100EEvPKT0_PS4_
		.amdhsa_group_segment_fixed_size 18432
		.amdhsa_private_segment_fixed_size 0
		.amdhsa_kernarg_size 272
		.amdhsa_user_sgpr_count 6
		.amdhsa_user_sgpr_private_segment_buffer 1
		.amdhsa_user_sgpr_dispatch_ptr 0
		.amdhsa_user_sgpr_queue_ptr 0
		.amdhsa_user_sgpr_kernarg_segment_ptr 1
		.amdhsa_user_sgpr_dispatch_id 0
		.amdhsa_user_sgpr_flat_scratch_init 0
		.amdhsa_user_sgpr_private_segment_size 0
		.amdhsa_uses_dynamic_stack 0
		.amdhsa_system_sgpr_private_segment_wavefront_offset 0
		.amdhsa_system_sgpr_workgroup_id_x 1
		.amdhsa_system_sgpr_workgroup_id_y 0
		.amdhsa_system_sgpr_workgroup_id_z 0
		.amdhsa_system_sgpr_workgroup_info 0
		.amdhsa_system_vgpr_workitem_id 2
		.amdhsa_next_free_vgpr 75
		.amdhsa_next_free_sgpr 98
		.amdhsa_reserve_vcc 1
		.amdhsa_reserve_flat_scratch 0
		.amdhsa_float_round_mode_32 0
		.amdhsa_float_round_mode_16_64 0
		.amdhsa_float_denorm_mode_32 3
		.amdhsa_float_denorm_mode_16_64 3
		.amdhsa_dx10_clamp 1
		.amdhsa_ieee_mode 1
		.amdhsa_fp16_overflow 0
		.amdhsa_exception_fp_ieee_invalid_op 0
		.amdhsa_exception_fp_denorm_src 0
		.amdhsa_exception_fp_ieee_div_zero 0
		.amdhsa_exception_fp_ieee_overflow 0
		.amdhsa_exception_fp_ieee_underflow 0
		.amdhsa_exception_fp_ieee_inexact 0
		.amdhsa_exception_int_div_zero 0
	.end_amdhsa_kernel
	.section	.text._Z6kernelI9histogramILN6hipcub23BlockHistogramAlgorithmE1EEyLj256ELj8ELj256ELj100EEvPKT0_PS4_,"axG",@progbits,_Z6kernelI9histogramILN6hipcub23BlockHistogramAlgorithmE1EEyLj256ELj8ELj256ELj100EEvPKT0_PS4_,comdat
.Lfunc_end52:
	.size	_Z6kernelI9histogramILN6hipcub23BlockHistogramAlgorithmE1EEyLj256ELj8ELj256ELj100EEvPKT0_PS4_, .Lfunc_end52-_Z6kernelI9histogramILN6hipcub23BlockHistogramAlgorithmE1EEyLj256ELj8ELj256ELj100EEvPKT0_PS4_
                                        ; -- End function
	.set _Z6kernelI9histogramILN6hipcub23BlockHistogramAlgorithmE1EEyLj256ELj8ELj256ELj100EEvPKT0_PS4_.num_vgpr, 75
	.set _Z6kernelI9histogramILN6hipcub23BlockHistogramAlgorithmE1EEyLj256ELj8ELj256ELj100EEvPKT0_PS4_.num_agpr, 0
	.set _Z6kernelI9histogramILN6hipcub23BlockHistogramAlgorithmE1EEyLj256ELj8ELj256ELj100EEvPKT0_PS4_.numbered_sgpr, 42
	.set _Z6kernelI9histogramILN6hipcub23BlockHistogramAlgorithmE1EEyLj256ELj8ELj256ELj100EEvPKT0_PS4_.num_named_barrier, 0
	.set _Z6kernelI9histogramILN6hipcub23BlockHistogramAlgorithmE1EEyLj256ELj8ELj256ELj100EEvPKT0_PS4_.private_seg_size, 0
	.set _Z6kernelI9histogramILN6hipcub23BlockHistogramAlgorithmE1EEyLj256ELj8ELj256ELj100EEvPKT0_PS4_.uses_vcc, 1
	.set _Z6kernelI9histogramILN6hipcub23BlockHistogramAlgorithmE1EEyLj256ELj8ELj256ELj100EEvPKT0_PS4_.uses_flat_scratch, 0
	.set _Z6kernelI9histogramILN6hipcub23BlockHistogramAlgorithmE1EEyLj256ELj8ELj256ELj100EEvPKT0_PS4_.has_dyn_sized_stack, 0
	.set _Z6kernelI9histogramILN6hipcub23BlockHistogramAlgorithmE1EEyLj256ELj8ELj256ELj100EEvPKT0_PS4_.has_recursion, 0
	.set _Z6kernelI9histogramILN6hipcub23BlockHistogramAlgorithmE1EEyLj256ELj8ELj256ELj100EEvPKT0_PS4_.has_indirect_call, 0
	.section	.AMDGPU.csdata,"",@progbits
; Kernel info:
; codeLenInByte = 4984
; TotalNumSgprs: 46
; NumVgprs: 75
; ScratchSize: 0
; MemoryBound: 0
; FloatMode: 240
; IeeeMode: 1
; LDSByteSize: 18432 bytes/workgroup (compile time only)
; SGPRBlocks: 12
; VGPRBlocks: 18
; NumSGPRsForWavesPerEU: 102
; NumVGPRsForWavesPerEU: 75
; Occupancy: 3
; WaveLimiterHint : 0
; COMPUTE_PGM_RSRC2:SCRATCH_EN: 0
; COMPUTE_PGM_RSRC2:USER_SGPR: 6
; COMPUTE_PGM_RSRC2:TRAP_HANDLER: 0
; COMPUTE_PGM_RSRC2:TGID_X_EN: 1
; COMPUTE_PGM_RSRC2:TGID_Y_EN: 0
; COMPUTE_PGM_RSRC2:TGID_Z_EN: 0
; COMPUTE_PGM_RSRC2:TIDIG_COMP_CNT: 2
	.section	.text._Z6kernelI9histogramILN6hipcub23BlockHistogramAlgorithmE1EEyLj256ELj16ELj256ELj100EEvPKT0_PS4_,"axG",@progbits,_Z6kernelI9histogramILN6hipcub23BlockHistogramAlgorithmE1EEyLj256ELj16ELj256ELj100EEvPKT0_PS4_,comdat
	.protected	_Z6kernelI9histogramILN6hipcub23BlockHistogramAlgorithmE1EEyLj256ELj16ELj256ELj100EEvPKT0_PS4_ ; -- Begin function _Z6kernelI9histogramILN6hipcub23BlockHistogramAlgorithmE1EEyLj256ELj16ELj256ELj100EEvPKT0_PS4_
	.globl	_Z6kernelI9histogramILN6hipcub23BlockHistogramAlgorithmE1EEyLj256ELj16ELj256ELj100EEvPKT0_PS4_
	.p2align	8
	.type	_Z6kernelI9histogramILN6hipcub23BlockHistogramAlgorithmE1EEyLj256ELj16ELj256ELj100EEvPKT0_PS4_,@function
_Z6kernelI9histogramILN6hipcub23BlockHistogramAlgorithmE1EEyLj256ELj16ELj256ELj100EEvPKT0_PS4_: ; @_Z6kernelI9histogramILN6hipcub23BlockHistogramAlgorithmE1EEyLj256ELj16ELj256ELj100EEvPKT0_PS4_
; %bb.0:
	s_load_dwordx4 s[36:39], s[4:5], 0x0
	s_load_dword s2, s[4:5], 0x1c
	v_lshlrev_b32_e32 v73, 4, v0
	v_mov_b32_e32 v35, 0
	v_lshl_or_b32 v3, s6, 12, v73
	v_mov_b32_e32 v4, v35
	v_lshlrev_b64 v[3:4], 3, v[3:4]
	s_waitcnt lgkmcnt(0)
	v_mov_b32_e32 v5, s37
	v_add_co_u32_e32 v36, vcc, s36, v3
	v_addc_co_u32_e32 v37, vcc, v5, v4, vcc
	global_load_dwordx4 v[3:6], v[36:37], off offset:48
	global_load_dwordx4 v[11:14], v[36:37], off offset:32
	;; [unrolled: 1-line block ×3, first 2 shown]
	global_load_dwordx4 v[19:22], v[36:37], off
	global_load_dwordx4 v[15:18], v[36:37], off offset:112
	global_load_dwordx4 v[23:26], v[36:37], off offset:96
	;; [unrolled: 1-line block ×4, first 2 shown]
	s_lshr_b32 s3, s2, 16
	v_mbcnt_lo_u32_b32 v36, -1, 0
	s_and_b32 s2, s2, 0xffff
	v_mad_u32_u24 v1, v2, s3, v1
	v_mbcnt_hi_u32_b32 v36, -1, v36
	v_mad_u64_u32 v[1:2], s[2:3], v1, s2, v[0:1]
	v_and_b32_e32 v2, 15, v36
	v_and_b32_e32 v37, 0xc0, v0
	v_cmp_eq_u32_e64 s[2:3], 0, v2
	v_cmp_lt_u32_e64 s[4:5], 1, v2
	v_cmp_lt_u32_e64 s[30:31], 3, v2
	;; [unrolled: 1-line block ×3, first 2 shown]
	v_and_b32_e32 v2, 16, v36
	v_cmp_eq_u32_e64 s[10:11], 0, v2
	v_or_b32_e32 v2, 63, v37
	v_add_lshl_u32 v74, v36, v37, 7
	v_cmp_eq_u32_e64 s[14:15], v0, v2
	v_subrev_co_u32_e64 v2, s[20:21], 1, v36
	v_and_b32_e32 v37, 64, v36
	v_cmp_lt_i32_e32 vcc, v2, v37
	v_cndmask_b32_e32 v2, v2, v36, vcc
	v_lshlrev_b32_e32 v76, 2, v2
	v_lshrrev_b32_e32 v2, 4, v0
	v_and_b32_e32 v77, 12, v2
	v_and_b32_e32 v2, 3, v36
	s_mov_b32 s36, 0
	v_lshlrev_b32_e32 v38, 7, v0
	v_mad_i32_i24 v78, v0, -12, v73
	v_cmp_eq_u32_e64 s[26:27], 0, v2
	v_cmp_lt_u32_e64 s[28:29], 1, v2
	s_movk_i32 s7, 0x7c
	v_mov_b32_e32 v2, 0x8000
	v_and_b32_e32 v38, 0x6000, v38
	v_mad_u32_u24 v80, v0, s7, v78
	s_movk_i32 s7, 0xff88
	v_lshl_or_b32 v82, v0, 3, v2
	v_lshlrev_b32_e32 v2, 2, v0
	s_mov_b32 s37, s36
	s_mov_b32 s35, s36
	s_movk_i32 s0, 0x100
	v_lshl_or_b32 v75, v36, 3, v38
	v_mad_i32_i24 v81, v0, s7, v80
	v_sub_u32_e32 v2, 0, v2
	v_lshrrev_b32_e32 v1, 4, v1
	s_mov_b32 s34, s36
	v_mov_b32_e32 v38, s37
	v_mov_b32_e32 v40, s35
	v_cmp_gt_u32_e64 s[0:1], s0, v0
	v_cmp_lt_u32_e64 s[12:13], 31, v36
	v_cmp_gt_u32_e64 s[16:17], 4, v0
	v_cmp_lt_u32_e64 s[18:19], 63, v0
	v_cmp_eq_u32_e64 s[22:23], 0, v0
	v_cmp_ne_u32_e64 s[24:25], 0, v0
	v_add_u32_e32 v79, -4, v77
	v_or_b32_e32 v83, 15, v73
	v_or_b32_e32 v84, 14, v73
	;; [unrolled: 1-line block ×15, first 2 shown]
	v_add_u32_e32 v98, -8, v81
	v_and_b32_e32 v99, 0xffffffc, v1
	v_mov_b32_e32 v37, s36
	v_mov_b32_e32 v39, s34
	;; [unrolled: 1-line block ×3, first 2 shown]
	v_add_u32_e32 v101, v81, v2
	s_branch .LBB53_2
.LBB53_1:                               ;   in Loop: Header=BB53_2 Depth=1
	s_or_b64 exec, exec, s[34:35]
	s_waitcnt lgkmcnt(0)
	s_barrier
	ds_read2st64_b32 v[1:2], v101 offset0:16 offset1:20
	ds_read_b64 v[41:42], v82
	s_add_i32 s36, s36, 1
	s_cmpk_lg_i32 s36, 0x64
	s_waitcnt lgkmcnt(1)
	v_sub_u32_e32 v1, v2, v1
	s_waitcnt lgkmcnt(0)
	v_add_co_u32_e32 v1, vcc, v41, v1
	v_addc_co_u32_e32 v2, vcc, 0, v42, vcc
	ds_write_b64 v82, v[1:2]
	s_cbranch_scc0 .LBB53_81
.LBB53_2:                               ; =>This Loop Header: Depth=1
                                        ;     Child Loop BB53_6 Depth 2
	s_and_saveexec_b64 s[34:35], s[0:1]
; %bb.3:                                ;   in Loop: Header=BB53_2 Depth=1
	v_mov_b32_e32 v36, v35
	ds_write_b64 v82, v[35:36]
; %bb.4:                                ;   in Loop: Header=BB53_2 Depth=1
	s_or_b64 exec, exec, s[34:35]
	s_waitcnt vmcnt(0) lgkmcnt(0)
	s_barrier
	ds_write2_b64 v74, v[19:20], v[21:22] offset1:1
	ds_write2_b64 v74, v[7:8], v[9:10] offset0:2 offset1:3
	ds_write2_b64 v74, v[11:12], v[13:14] offset0:4 offset1:5
	;; [unrolled: 1-line block ×7, first 2 shown]
	; wave barrier
	ds_read2st64_b64 v[1:4], v75 offset1:1
	ds_read2st64_b64 v[5:8], v75 offset0:2 offset1:3
	ds_read2st64_b64 v[9:12], v75 offset0:4 offset1:5
	;; [unrolled: 1-line block ×7, first 2 shown]
	v_mov_b32_e32 v43, 0
	v_mov_b32_e32 v44, 0
	s_waitcnt lgkmcnt(0)
	s_barrier
	; wave barrier
	s_barrier
	s_branch .LBB53_6
.LBB53_5:                               ;   in Loop: Header=BB53_6 Depth=2
	s_andn2_b64 vcc, exec, s[34:35]
	s_cbranch_vccz .LBB53_46
.LBB53_6:                               ;   Parent Loop BB53_2 Depth=1
                                        ; =>  This Inner Loop Header: Depth=2
	v_mov_b32_e32 v72, v2
	v_mov_b32_e32 v71, v1
	v_lshrrev_b64 v[1:2], v43, v[71:72]
	v_mov_b32_e32 v68, v6
	v_lshlrev_b32_e32 v2, 4, v1
	v_and_b32_e32 v2, 0xff0, v2
	v_mov_b32_e32 v70, v4
	v_mov_b32_e32 v67, v5
	v_add_u32_e32 v5, v99, v2
	v_and_b32_e32 v2, 1, v1
	v_mov_b32_e32 v69, v3
	v_add_co_u32_e32 v3, vcc, -1, v2
	v_addc_co_u32_e64 v4, s[34:35], 0, -1, vcc
	v_cmp_ne_u32_e32 vcc, 0, v2
	v_lshlrev_b32_e32 v36, 30, v1
	v_xor_b32_e32 v2, vcc_hi, v4
	v_xor_b32_e32 v3, vcc_lo, v3
	v_cmp_gt_i64_e32 vcc, 0, v[35:36]
	v_not_b32_e32 v4, v36
	v_ashrrev_i32_e32 v4, 31, v4
	v_and_b32_e32 v3, exec_lo, v3
	v_xor_b32_e32 v6, vcc_hi, v4
	v_xor_b32_e32 v4, vcc_lo, v4
	v_lshlrev_b32_e32 v36, 29, v1
	v_and_b32_e32 v3, v3, v4
	v_cmp_gt_i64_e32 vcc, 0, v[35:36]
	v_not_b32_e32 v4, v36
	v_and_b32_e32 v2, exec_hi, v2
	v_ashrrev_i32_e32 v4, 31, v4
	v_and_b32_e32 v2, v2, v6
	v_xor_b32_e32 v6, vcc_hi, v4
	v_xor_b32_e32 v4, vcc_lo, v4
	v_lshlrev_b32_e32 v36, 28, v1
	v_and_b32_e32 v3, v3, v4
	v_cmp_gt_i64_e32 vcc, 0, v[35:36]
	v_not_b32_e32 v4, v36
	v_ashrrev_i32_e32 v4, 31, v4
	v_and_b32_e32 v2, v2, v6
	v_xor_b32_e32 v6, vcc_hi, v4
	v_xor_b32_e32 v4, vcc_lo, v4
	v_lshlrev_b32_e32 v36, 27, v1
	v_and_b32_e32 v3, v3, v4
	v_cmp_gt_i64_e32 vcc, 0, v[35:36]
	v_not_b32_e32 v4, v36
	;; [unrolled: 8-line block ×4, first 2 shown]
	v_ashrrev_i32_e32 v4, 31, v4
	v_lshlrev_b32_e32 v36, 24, v1
	v_and_b32_e32 v2, v2, v6
	v_xor_b32_e32 v6, vcc_hi, v4
	v_xor_b32_e32 v4, vcc_lo, v4
	v_cmp_gt_i64_e32 vcc, 0, v[35:36]
	v_not_b32_e32 v1, v36
	v_ashrrev_i32_e32 v1, 31, v1
	v_and_b32_e32 v3, v3, v4
	v_xor_b32_e32 v4, vcc_hi, v1
	v_xor_b32_e32 v1, vcc_lo, v1
	v_and_b32_e32 v2, v2, v6
	v_and_b32_e32 v1, v3, v1
	;; [unrolled: 1-line block ×3, first 2 shown]
	v_mbcnt_lo_u32_b32 v3, v1, 0
	v_mbcnt_hi_u32_b32 v6, v2, v3
	v_cmp_ne_u64_e32 vcc, 0, v[1:2]
	v_mov_b32_e32 v66, v8
	v_mov_b32_e32 v64, v10
	;; [unrolled: 1-line block ×13, first 2 shown]
	v_cmp_eq_u32_e64 s[34:35], 0, v6
	v_mov_b32_e32 v65, v7
	v_mov_b32_e32 v63, v9
	;; [unrolled: 1-line block ×13, first 2 shown]
	s_and_b64 s[40:41], vcc, s[34:35]
	ds_write2_b64 v73, v[37:38], v[39:40] offset0:2 offset1:3
	s_waitcnt lgkmcnt(0)
	s_barrier
	; wave barrier
	s_and_saveexec_b64 s[34:35], s[40:41]
; %bb.7:                                ;   in Loop: Header=BB53_6 Depth=2
	v_bcnt_u32_b32 v1, v1, 0
	v_bcnt_u32_b32 v1, v2, v1
	ds_write_b32 v5, v1 offset:16
; %bb.8:                                ;   in Loop: Header=BB53_6 Depth=2
	s_or_b64 exec, exec, s[34:35]
	v_lshrrev_b64 v[1:2], v43, v[69:70]
	v_lshlrev_b32_e32 v2, 4, v1
	v_and_b32_e32 v2, 0xff0, v2
	v_add_u32_e32 v8, v99, v2
	v_and_b32_e32 v2, 1, v1
	v_add_co_u32_e32 v3, vcc, -1, v2
	v_addc_co_u32_e64 v4, s[34:35], 0, -1, vcc
	v_cmp_ne_u32_e32 vcc, 0, v2
	v_lshlrev_b32_e32 v36, 30, v1
	v_xor_b32_e32 v2, vcc_hi, v4
	v_xor_b32_e32 v3, vcc_lo, v3
	v_cmp_gt_i64_e32 vcc, 0, v[35:36]
	v_not_b32_e32 v4, v36
	v_ashrrev_i32_e32 v4, 31, v4
	v_and_b32_e32 v3, exec_lo, v3
	v_xor_b32_e32 v9, vcc_hi, v4
	v_xor_b32_e32 v4, vcc_lo, v4
	v_lshlrev_b32_e32 v36, 29, v1
	v_and_b32_e32 v3, v3, v4
	v_cmp_gt_i64_e32 vcc, 0, v[35:36]
	v_not_b32_e32 v4, v36
	v_and_b32_e32 v2, exec_hi, v2
	v_ashrrev_i32_e32 v4, 31, v4
	v_and_b32_e32 v2, v2, v9
	v_xor_b32_e32 v9, vcc_hi, v4
	v_xor_b32_e32 v4, vcc_lo, v4
	v_lshlrev_b32_e32 v36, 28, v1
	v_and_b32_e32 v3, v3, v4
	v_cmp_gt_i64_e32 vcc, 0, v[35:36]
	v_not_b32_e32 v4, v36
	v_ashrrev_i32_e32 v4, 31, v4
	v_and_b32_e32 v2, v2, v9
	v_xor_b32_e32 v9, vcc_hi, v4
	v_xor_b32_e32 v4, vcc_lo, v4
	v_lshlrev_b32_e32 v36, 27, v1
	v_and_b32_e32 v3, v3, v4
	v_cmp_gt_i64_e32 vcc, 0, v[35:36]
	v_not_b32_e32 v4, v36
	;; [unrolled: 8-line block ×4, first 2 shown]
	v_ashrrev_i32_e32 v4, 31, v4
	v_lshlrev_b32_e32 v36, 24, v1
	v_and_b32_e32 v2, v2, v9
	v_xor_b32_e32 v9, vcc_hi, v4
	v_xor_b32_e32 v4, vcc_lo, v4
	v_cmp_gt_i64_e32 vcc, 0, v[35:36]
	v_not_b32_e32 v1, v36
	v_ashrrev_i32_e32 v1, 31, v1
	v_and_b32_e32 v3, v3, v4
	v_xor_b32_e32 v4, vcc_hi, v1
	v_xor_b32_e32 v1, vcc_lo, v1
	; wave barrier
	ds_read_b32 v7, v8 offset:16
	v_and_b32_e32 v2, v2, v9
	v_and_b32_e32 v1, v3, v1
	;; [unrolled: 1-line block ×3, first 2 shown]
	v_mbcnt_lo_u32_b32 v3, v1, 0
	v_mbcnt_hi_u32_b32 v9, v2, v3
	v_cmp_ne_u64_e32 vcc, 0, v[1:2]
	v_cmp_eq_u32_e64 s[34:35], 0, v9
	s_and_b64 s[40:41], vcc, s[34:35]
	; wave barrier
	s_and_saveexec_b64 s[34:35], s[40:41]
	s_cbranch_execz .LBB53_10
; %bb.9:                                ;   in Loop: Header=BB53_6 Depth=2
	v_bcnt_u32_b32 v1, v1, 0
	v_bcnt_u32_b32 v1, v2, v1
	s_waitcnt lgkmcnt(0)
	v_add_u32_e32 v1, v7, v1
	ds_write_b32 v8, v1 offset:16
.LBB53_10:                              ;   in Loop: Header=BB53_6 Depth=2
	s_or_b64 exec, exec, s[34:35]
	v_lshrrev_b64 v[1:2], v43, v[67:68]
	v_lshlrev_b32_e32 v2, 4, v1
	v_and_b32_e32 v2, 0xff0, v2
	v_add_u32_e32 v11, v99, v2
	v_and_b32_e32 v2, 1, v1
	v_add_co_u32_e32 v3, vcc, -1, v2
	v_addc_co_u32_e64 v4, s[34:35], 0, -1, vcc
	v_cmp_ne_u32_e32 vcc, 0, v2
	v_lshlrev_b32_e32 v36, 30, v1
	v_xor_b32_e32 v2, vcc_hi, v4
	v_xor_b32_e32 v3, vcc_lo, v3
	v_cmp_gt_i64_e32 vcc, 0, v[35:36]
	v_not_b32_e32 v4, v36
	v_ashrrev_i32_e32 v4, 31, v4
	v_and_b32_e32 v3, exec_lo, v3
	v_xor_b32_e32 v12, vcc_hi, v4
	v_xor_b32_e32 v4, vcc_lo, v4
	v_lshlrev_b32_e32 v36, 29, v1
	v_and_b32_e32 v3, v3, v4
	v_cmp_gt_i64_e32 vcc, 0, v[35:36]
	v_not_b32_e32 v4, v36
	v_and_b32_e32 v2, exec_hi, v2
	v_ashrrev_i32_e32 v4, 31, v4
	v_and_b32_e32 v2, v2, v12
	v_xor_b32_e32 v12, vcc_hi, v4
	v_xor_b32_e32 v4, vcc_lo, v4
	v_lshlrev_b32_e32 v36, 28, v1
	v_and_b32_e32 v3, v3, v4
	v_cmp_gt_i64_e32 vcc, 0, v[35:36]
	v_not_b32_e32 v4, v36
	v_ashrrev_i32_e32 v4, 31, v4
	v_and_b32_e32 v2, v2, v12
	v_xor_b32_e32 v12, vcc_hi, v4
	v_xor_b32_e32 v4, vcc_lo, v4
	v_lshlrev_b32_e32 v36, 27, v1
	v_and_b32_e32 v3, v3, v4
	v_cmp_gt_i64_e32 vcc, 0, v[35:36]
	v_not_b32_e32 v4, v36
	;; [unrolled: 8-line block ×4, first 2 shown]
	v_ashrrev_i32_e32 v4, 31, v4
	v_lshlrev_b32_e32 v36, 24, v1
	v_and_b32_e32 v2, v2, v12
	v_xor_b32_e32 v12, vcc_hi, v4
	v_xor_b32_e32 v4, vcc_lo, v4
	v_cmp_gt_i64_e32 vcc, 0, v[35:36]
	v_not_b32_e32 v1, v36
	v_ashrrev_i32_e32 v1, 31, v1
	v_and_b32_e32 v3, v3, v4
	v_xor_b32_e32 v4, vcc_hi, v1
	v_xor_b32_e32 v1, vcc_lo, v1
	; wave barrier
	ds_read_b32 v10, v11 offset:16
	v_and_b32_e32 v2, v2, v12
	v_and_b32_e32 v1, v3, v1
	;; [unrolled: 1-line block ×3, first 2 shown]
	v_mbcnt_lo_u32_b32 v3, v1, 0
	v_mbcnt_hi_u32_b32 v12, v2, v3
	v_cmp_ne_u64_e32 vcc, 0, v[1:2]
	v_cmp_eq_u32_e64 s[34:35], 0, v12
	s_and_b64 s[40:41], vcc, s[34:35]
	; wave barrier
	s_and_saveexec_b64 s[34:35], s[40:41]
	s_cbranch_execz .LBB53_12
; %bb.11:                               ;   in Loop: Header=BB53_6 Depth=2
	v_bcnt_u32_b32 v1, v1, 0
	v_bcnt_u32_b32 v1, v2, v1
	s_waitcnt lgkmcnt(0)
	v_add_u32_e32 v1, v10, v1
	ds_write_b32 v11, v1 offset:16
.LBB53_12:                              ;   in Loop: Header=BB53_6 Depth=2
	s_or_b64 exec, exec, s[34:35]
	v_lshrrev_b64 v[1:2], v43, v[65:66]
	v_lshlrev_b32_e32 v2, 4, v1
	v_and_b32_e32 v2, 0xff0, v2
	v_add_u32_e32 v14, v99, v2
	v_and_b32_e32 v2, 1, v1
	v_add_co_u32_e32 v3, vcc, -1, v2
	v_addc_co_u32_e64 v4, s[34:35], 0, -1, vcc
	v_cmp_ne_u32_e32 vcc, 0, v2
	v_lshlrev_b32_e32 v36, 30, v1
	v_xor_b32_e32 v2, vcc_hi, v4
	v_xor_b32_e32 v3, vcc_lo, v3
	v_cmp_gt_i64_e32 vcc, 0, v[35:36]
	v_not_b32_e32 v4, v36
	v_ashrrev_i32_e32 v4, 31, v4
	v_and_b32_e32 v3, exec_lo, v3
	v_xor_b32_e32 v15, vcc_hi, v4
	v_xor_b32_e32 v4, vcc_lo, v4
	v_lshlrev_b32_e32 v36, 29, v1
	v_and_b32_e32 v3, v3, v4
	v_cmp_gt_i64_e32 vcc, 0, v[35:36]
	v_not_b32_e32 v4, v36
	v_and_b32_e32 v2, exec_hi, v2
	v_ashrrev_i32_e32 v4, 31, v4
	v_and_b32_e32 v2, v2, v15
	v_xor_b32_e32 v15, vcc_hi, v4
	v_xor_b32_e32 v4, vcc_lo, v4
	v_lshlrev_b32_e32 v36, 28, v1
	v_and_b32_e32 v3, v3, v4
	v_cmp_gt_i64_e32 vcc, 0, v[35:36]
	v_not_b32_e32 v4, v36
	v_ashrrev_i32_e32 v4, 31, v4
	v_and_b32_e32 v2, v2, v15
	v_xor_b32_e32 v15, vcc_hi, v4
	v_xor_b32_e32 v4, vcc_lo, v4
	v_lshlrev_b32_e32 v36, 27, v1
	v_and_b32_e32 v3, v3, v4
	v_cmp_gt_i64_e32 vcc, 0, v[35:36]
	v_not_b32_e32 v4, v36
	;; [unrolled: 8-line block ×4, first 2 shown]
	v_ashrrev_i32_e32 v4, 31, v4
	v_lshlrev_b32_e32 v36, 24, v1
	v_and_b32_e32 v2, v2, v15
	v_xor_b32_e32 v15, vcc_hi, v4
	v_xor_b32_e32 v4, vcc_lo, v4
	v_cmp_gt_i64_e32 vcc, 0, v[35:36]
	v_not_b32_e32 v1, v36
	v_ashrrev_i32_e32 v1, 31, v1
	v_and_b32_e32 v3, v3, v4
	v_xor_b32_e32 v4, vcc_hi, v1
	v_xor_b32_e32 v1, vcc_lo, v1
	; wave barrier
	ds_read_b32 v13, v14 offset:16
	v_and_b32_e32 v2, v2, v15
	v_and_b32_e32 v1, v3, v1
	;; [unrolled: 1-line block ×3, first 2 shown]
	v_mbcnt_lo_u32_b32 v3, v1, 0
	v_mbcnt_hi_u32_b32 v15, v2, v3
	v_cmp_ne_u64_e32 vcc, 0, v[1:2]
	v_cmp_eq_u32_e64 s[34:35], 0, v15
	s_and_b64 s[40:41], vcc, s[34:35]
	; wave barrier
	s_and_saveexec_b64 s[34:35], s[40:41]
	s_cbranch_execz .LBB53_14
; %bb.13:                               ;   in Loop: Header=BB53_6 Depth=2
	v_bcnt_u32_b32 v1, v1, 0
	v_bcnt_u32_b32 v1, v2, v1
	s_waitcnt lgkmcnt(0)
	v_add_u32_e32 v1, v13, v1
	ds_write_b32 v14, v1 offset:16
.LBB53_14:                              ;   in Loop: Header=BB53_6 Depth=2
	s_or_b64 exec, exec, s[34:35]
	v_lshrrev_b64 v[1:2], v43, v[63:64]
	v_lshlrev_b32_e32 v2, 4, v1
	v_and_b32_e32 v2, 0xff0, v2
	v_add_u32_e32 v17, v99, v2
	v_and_b32_e32 v2, 1, v1
	v_add_co_u32_e32 v3, vcc, -1, v2
	v_addc_co_u32_e64 v4, s[34:35], 0, -1, vcc
	v_cmp_ne_u32_e32 vcc, 0, v2
	v_lshlrev_b32_e32 v36, 30, v1
	v_xor_b32_e32 v2, vcc_hi, v4
	v_xor_b32_e32 v3, vcc_lo, v3
	v_cmp_gt_i64_e32 vcc, 0, v[35:36]
	v_not_b32_e32 v4, v36
	v_ashrrev_i32_e32 v4, 31, v4
	v_and_b32_e32 v3, exec_lo, v3
	v_xor_b32_e32 v18, vcc_hi, v4
	v_xor_b32_e32 v4, vcc_lo, v4
	v_lshlrev_b32_e32 v36, 29, v1
	v_and_b32_e32 v3, v3, v4
	v_cmp_gt_i64_e32 vcc, 0, v[35:36]
	v_not_b32_e32 v4, v36
	v_and_b32_e32 v2, exec_hi, v2
	v_ashrrev_i32_e32 v4, 31, v4
	v_and_b32_e32 v2, v2, v18
	v_xor_b32_e32 v18, vcc_hi, v4
	v_xor_b32_e32 v4, vcc_lo, v4
	v_lshlrev_b32_e32 v36, 28, v1
	v_and_b32_e32 v3, v3, v4
	v_cmp_gt_i64_e32 vcc, 0, v[35:36]
	v_not_b32_e32 v4, v36
	v_ashrrev_i32_e32 v4, 31, v4
	v_and_b32_e32 v2, v2, v18
	v_xor_b32_e32 v18, vcc_hi, v4
	v_xor_b32_e32 v4, vcc_lo, v4
	v_lshlrev_b32_e32 v36, 27, v1
	v_and_b32_e32 v3, v3, v4
	v_cmp_gt_i64_e32 vcc, 0, v[35:36]
	v_not_b32_e32 v4, v36
	;; [unrolled: 8-line block ×4, first 2 shown]
	v_ashrrev_i32_e32 v4, 31, v4
	v_lshlrev_b32_e32 v36, 24, v1
	v_and_b32_e32 v2, v2, v18
	v_xor_b32_e32 v18, vcc_hi, v4
	v_xor_b32_e32 v4, vcc_lo, v4
	v_cmp_gt_i64_e32 vcc, 0, v[35:36]
	v_not_b32_e32 v1, v36
	v_ashrrev_i32_e32 v1, 31, v1
	v_and_b32_e32 v3, v3, v4
	v_xor_b32_e32 v4, vcc_hi, v1
	v_xor_b32_e32 v1, vcc_lo, v1
	; wave barrier
	ds_read_b32 v16, v17 offset:16
	v_and_b32_e32 v2, v2, v18
	v_and_b32_e32 v1, v3, v1
	;; [unrolled: 1-line block ×3, first 2 shown]
	v_mbcnt_lo_u32_b32 v3, v1, 0
	v_mbcnt_hi_u32_b32 v18, v2, v3
	v_cmp_ne_u64_e32 vcc, 0, v[1:2]
	v_cmp_eq_u32_e64 s[34:35], 0, v18
	s_and_b64 s[40:41], vcc, s[34:35]
	; wave barrier
	s_and_saveexec_b64 s[34:35], s[40:41]
	s_cbranch_execz .LBB53_16
; %bb.15:                               ;   in Loop: Header=BB53_6 Depth=2
	v_bcnt_u32_b32 v1, v1, 0
	v_bcnt_u32_b32 v1, v2, v1
	s_waitcnt lgkmcnt(0)
	v_add_u32_e32 v1, v16, v1
	ds_write_b32 v17, v1 offset:16
.LBB53_16:                              ;   in Loop: Header=BB53_6 Depth=2
	s_or_b64 exec, exec, s[34:35]
	v_lshrrev_b64 v[1:2], v43, v[61:62]
	v_lshlrev_b32_e32 v2, 4, v1
	v_and_b32_e32 v2, 0xff0, v2
	v_add_u32_e32 v20, v99, v2
	v_and_b32_e32 v2, 1, v1
	v_add_co_u32_e32 v3, vcc, -1, v2
	v_addc_co_u32_e64 v4, s[34:35], 0, -1, vcc
	v_cmp_ne_u32_e32 vcc, 0, v2
	v_lshlrev_b32_e32 v36, 30, v1
	v_xor_b32_e32 v2, vcc_hi, v4
	v_xor_b32_e32 v3, vcc_lo, v3
	v_cmp_gt_i64_e32 vcc, 0, v[35:36]
	v_not_b32_e32 v4, v36
	v_ashrrev_i32_e32 v4, 31, v4
	v_and_b32_e32 v3, exec_lo, v3
	v_xor_b32_e32 v21, vcc_hi, v4
	v_xor_b32_e32 v4, vcc_lo, v4
	v_lshlrev_b32_e32 v36, 29, v1
	v_and_b32_e32 v3, v3, v4
	v_cmp_gt_i64_e32 vcc, 0, v[35:36]
	v_not_b32_e32 v4, v36
	v_and_b32_e32 v2, exec_hi, v2
	v_ashrrev_i32_e32 v4, 31, v4
	v_and_b32_e32 v2, v2, v21
	v_xor_b32_e32 v21, vcc_hi, v4
	v_xor_b32_e32 v4, vcc_lo, v4
	v_lshlrev_b32_e32 v36, 28, v1
	v_and_b32_e32 v3, v3, v4
	v_cmp_gt_i64_e32 vcc, 0, v[35:36]
	v_not_b32_e32 v4, v36
	v_ashrrev_i32_e32 v4, 31, v4
	v_and_b32_e32 v2, v2, v21
	v_xor_b32_e32 v21, vcc_hi, v4
	v_xor_b32_e32 v4, vcc_lo, v4
	v_lshlrev_b32_e32 v36, 27, v1
	v_and_b32_e32 v3, v3, v4
	v_cmp_gt_i64_e32 vcc, 0, v[35:36]
	v_not_b32_e32 v4, v36
	;; [unrolled: 8-line block ×4, first 2 shown]
	v_ashrrev_i32_e32 v4, 31, v4
	v_lshlrev_b32_e32 v36, 24, v1
	v_and_b32_e32 v2, v2, v21
	v_xor_b32_e32 v21, vcc_hi, v4
	v_xor_b32_e32 v4, vcc_lo, v4
	v_cmp_gt_i64_e32 vcc, 0, v[35:36]
	v_not_b32_e32 v1, v36
	v_ashrrev_i32_e32 v1, 31, v1
	v_and_b32_e32 v3, v3, v4
	v_xor_b32_e32 v4, vcc_hi, v1
	v_xor_b32_e32 v1, vcc_lo, v1
	; wave barrier
	ds_read_b32 v19, v20 offset:16
	v_and_b32_e32 v2, v2, v21
	v_and_b32_e32 v1, v3, v1
	;; [unrolled: 1-line block ×3, first 2 shown]
	v_mbcnt_lo_u32_b32 v3, v1, 0
	v_mbcnt_hi_u32_b32 v21, v2, v3
	v_cmp_ne_u64_e32 vcc, 0, v[1:2]
	v_cmp_eq_u32_e64 s[34:35], 0, v21
	s_and_b64 s[40:41], vcc, s[34:35]
	; wave barrier
	s_and_saveexec_b64 s[34:35], s[40:41]
	s_cbranch_execz .LBB53_18
; %bb.17:                               ;   in Loop: Header=BB53_6 Depth=2
	v_bcnt_u32_b32 v1, v1, 0
	v_bcnt_u32_b32 v1, v2, v1
	s_waitcnt lgkmcnt(0)
	v_add_u32_e32 v1, v19, v1
	ds_write_b32 v20, v1 offset:16
.LBB53_18:                              ;   in Loop: Header=BB53_6 Depth=2
	s_or_b64 exec, exec, s[34:35]
	v_lshrrev_b64 v[1:2], v43, v[59:60]
	v_lshlrev_b32_e32 v2, 4, v1
	v_and_b32_e32 v2, 0xff0, v2
	v_add_u32_e32 v23, v99, v2
	v_and_b32_e32 v2, 1, v1
	v_add_co_u32_e32 v3, vcc, -1, v2
	v_addc_co_u32_e64 v4, s[34:35], 0, -1, vcc
	v_cmp_ne_u32_e32 vcc, 0, v2
	v_lshlrev_b32_e32 v36, 30, v1
	v_xor_b32_e32 v2, vcc_hi, v4
	v_xor_b32_e32 v3, vcc_lo, v3
	v_cmp_gt_i64_e32 vcc, 0, v[35:36]
	v_not_b32_e32 v4, v36
	v_ashrrev_i32_e32 v4, 31, v4
	v_and_b32_e32 v3, exec_lo, v3
	v_xor_b32_e32 v24, vcc_hi, v4
	v_xor_b32_e32 v4, vcc_lo, v4
	v_lshlrev_b32_e32 v36, 29, v1
	v_and_b32_e32 v3, v3, v4
	v_cmp_gt_i64_e32 vcc, 0, v[35:36]
	v_not_b32_e32 v4, v36
	v_and_b32_e32 v2, exec_hi, v2
	v_ashrrev_i32_e32 v4, 31, v4
	v_and_b32_e32 v2, v2, v24
	v_xor_b32_e32 v24, vcc_hi, v4
	v_xor_b32_e32 v4, vcc_lo, v4
	v_lshlrev_b32_e32 v36, 28, v1
	v_and_b32_e32 v3, v3, v4
	v_cmp_gt_i64_e32 vcc, 0, v[35:36]
	v_not_b32_e32 v4, v36
	v_ashrrev_i32_e32 v4, 31, v4
	v_and_b32_e32 v2, v2, v24
	v_xor_b32_e32 v24, vcc_hi, v4
	v_xor_b32_e32 v4, vcc_lo, v4
	v_lshlrev_b32_e32 v36, 27, v1
	v_and_b32_e32 v3, v3, v4
	v_cmp_gt_i64_e32 vcc, 0, v[35:36]
	v_not_b32_e32 v4, v36
	;; [unrolled: 8-line block ×4, first 2 shown]
	v_ashrrev_i32_e32 v4, 31, v4
	v_lshlrev_b32_e32 v36, 24, v1
	v_and_b32_e32 v2, v2, v24
	v_xor_b32_e32 v24, vcc_hi, v4
	v_xor_b32_e32 v4, vcc_lo, v4
	v_cmp_gt_i64_e32 vcc, 0, v[35:36]
	v_not_b32_e32 v1, v36
	v_ashrrev_i32_e32 v1, 31, v1
	v_and_b32_e32 v3, v3, v4
	v_xor_b32_e32 v4, vcc_hi, v1
	v_xor_b32_e32 v1, vcc_lo, v1
	; wave barrier
	ds_read_b32 v22, v23 offset:16
	v_and_b32_e32 v2, v2, v24
	v_and_b32_e32 v1, v3, v1
	;; [unrolled: 1-line block ×3, first 2 shown]
	v_mbcnt_lo_u32_b32 v3, v1, 0
	v_mbcnt_hi_u32_b32 v24, v2, v3
	v_cmp_ne_u64_e32 vcc, 0, v[1:2]
	v_cmp_eq_u32_e64 s[34:35], 0, v24
	s_and_b64 s[40:41], vcc, s[34:35]
	; wave barrier
	s_and_saveexec_b64 s[34:35], s[40:41]
	s_cbranch_execz .LBB53_20
; %bb.19:                               ;   in Loop: Header=BB53_6 Depth=2
	v_bcnt_u32_b32 v1, v1, 0
	v_bcnt_u32_b32 v1, v2, v1
	s_waitcnt lgkmcnt(0)
	v_add_u32_e32 v1, v22, v1
	ds_write_b32 v23, v1 offset:16
.LBB53_20:                              ;   in Loop: Header=BB53_6 Depth=2
	s_or_b64 exec, exec, s[34:35]
	v_lshrrev_b64 v[1:2], v43, v[57:58]
	v_lshlrev_b32_e32 v2, 4, v1
	v_and_b32_e32 v2, 0xff0, v2
	v_add_u32_e32 v26, v99, v2
	v_and_b32_e32 v2, 1, v1
	v_add_co_u32_e32 v3, vcc, -1, v2
	v_addc_co_u32_e64 v4, s[34:35], 0, -1, vcc
	v_cmp_ne_u32_e32 vcc, 0, v2
	v_lshlrev_b32_e32 v36, 30, v1
	v_xor_b32_e32 v2, vcc_hi, v4
	v_xor_b32_e32 v3, vcc_lo, v3
	v_cmp_gt_i64_e32 vcc, 0, v[35:36]
	v_not_b32_e32 v4, v36
	v_ashrrev_i32_e32 v4, 31, v4
	v_and_b32_e32 v3, exec_lo, v3
	v_xor_b32_e32 v27, vcc_hi, v4
	v_xor_b32_e32 v4, vcc_lo, v4
	v_lshlrev_b32_e32 v36, 29, v1
	v_and_b32_e32 v3, v3, v4
	v_cmp_gt_i64_e32 vcc, 0, v[35:36]
	v_not_b32_e32 v4, v36
	v_and_b32_e32 v2, exec_hi, v2
	v_ashrrev_i32_e32 v4, 31, v4
	v_and_b32_e32 v2, v2, v27
	v_xor_b32_e32 v27, vcc_hi, v4
	v_xor_b32_e32 v4, vcc_lo, v4
	v_lshlrev_b32_e32 v36, 28, v1
	v_and_b32_e32 v3, v3, v4
	v_cmp_gt_i64_e32 vcc, 0, v[35:36]
	v_not_b32_e32 v4, v36
	v_ashrrev_i32_e32 v4, 31, v4
	v_and_b32_e32 v2, v2, v27
	v_xor_b32_e32 v27, vcc_hi, v4
	v_xor_b32_e32 v4, vcc_lo, v4
	v_lshlrev_b32_e32 v36, 27, v1
	v_and_b32_e32 v3, v3, v4
	v_cmp_gt_i64_e32 vcc, 0, v[35:36]
	v_not_b32_e32 v4, v36
	;; [unrolled: 8-line block ×4, first 2 shown]
	v_ashrrev_i32_e32 v4, 31, v4
	v_lshlrev_b32_e32 v36, 24, v1
	v_and_b32_e32 v2, v2, v27
	v_xor_b32_e32 v27, vcc_hi, v4
	v_xor_b32_e32 v4, vcc_lo, v4
	v_cmp_gt_i64_e32 vcc, 0, v[35:36]
	v_not_b32_e32 v1, v36
	v_ashrrev_i32_e32 v1, 31, v1
	v_and_b32_e32 v3, v3, v4
	v_xor_b32_e32 v4, vcc_hi, v1
	v_xor_b32_e32 v1, vcc_lo, v1
	; wave barrier
	ds_read_b32 v25, v26 offset:16
	v_and_b32_e32 v2, v2, v27
	v_and_b32_e32 v1, v3, v1
	;; [unrolled: 1-line block ×3, first 2 shown]
	v_mbcnt_lo_u32_b32 v3, v1, 0
	v_mbcnt_hi_u32_b32 v27, v2, v3
	v_cmp_ne_u64_e32 vcc, 0, v[1:2]
	v_cmp_eq_u32_e64 s[34:35], 0, v27
	s_and_b64 s[40:41], vcc, s[34:35]
	; wave barrier
	s_and_saveexec_b64 s[34:35], s[40:41]
	s_cbranch_execz .LBB53_22
; %bb.21:                               ;   in Loop: Header=BB53_6 Depth=2
	v_bcnt_u32_b32 v1, v1, 0
	v_bcnt_u32_b32 v1, v2, v1
	s_waitcnt lgkmcnt(0)
	v_add_u32_e32 v1, v25, v1
	ds_write_b32 v26, v1 offset:16
.LBB53_22:                              ;   in Loop: Header=BB53_6 Depth=2
	s_or_b64 exec, exec, s[34:35]
	v_lshrrev_b64 v[1:2], v43, v[55:56]
	v_lshlrev_b32_e32 v2, 4, v1
	v_and_b32_e32 v2, 0xff0, v2
	v_add_u32_e32 v29, v99, v2
	v_and_b32_e32 v2, 1, v1
	v_add_co_u32_e32 v3, vcc, -1, v2
	v_addc_co_u32_e64 v4, s[34:35], 0, -1, vcc
	v_cmp_ne_u32_e32 vcc, 0, v2
	v_lshlrev_b32_e32 v36, 30, v1
	v_xor_b32_e32 v2, vcc_hi, v4
	v_xor_b32_e32 v3, vcc_lo, v3
	v_cmp_gt_i64_e32 vcc, 0, v[35:36]
	v_not_b32_e32 v4, v36
	v_ashrrev_i32_e32 v4, 31, v4
	v_and_b32_e32 v3, exec_lo, v3
	v_xor_b32_e32 v30, vcc_hi, v4
	v_xor_b32_e32 v4, vcc_lo, v4
	v_lshlrev_b32_e32 v36, 29, v1
	v_and_b32_e32 v3, v3, v4
	v_cmp_gt_i64_e32 vcc, 0, v[35:36]
	v_not_b32_e32 v4, v36
	v_and_b32_e32 v2, exec_hi, v2
	v_ashrrev_i32_e32 v4, 31, v4
	v_and_b32_e32 v2, v2, v30
	v_xor_b32_e32 v30, vcc_hi, v4
	v_xor_b32_e32 v4, vcc_lo, v4
	v_lshlrev_b32_e32 v36, 28, v1
	v_and_b32_e32 v3, v3, v4
	v_cmp_gt_i64_e32 vcc, 0, v[35:36]
	v_not_b32_e32 v4, v36
	v_ashrrev_i32_e32 v4, 31, v4
	v_and_b32_e32 v2, v2, v30
	v_xor_b32_e32 v30, vcc_hi, v4
	v_xor_b32_e32 v4, vcc_lo, v4
	v_lshlrev_b32_e32 v36, 27, v1
	v_and_b32_e32 v3, v3, v4
	v_cmp_gt_i64_e32 vcc, 0, v[35:36]
	v_not_b32_e32 v4, v36
	;; [unrolled: 8-line block ×4, first 2 shown]
	v_ashrrev_i32_e32 v4, 31, v4
	v_lshlrev_b32_e32 v36, 24, v1
	v_and_b32_e32 v2, v2, v30
	v_xor_b32_e32 v30, vcc_hi, v4
	v_xor_b32_e32 v4, vcc_lo, v4
	v_cmp_gt_i64_e32 vcc, 0, v[35:36]
	v_not_b32_e32 v1, v36
	v_ashrrev_i32_e32 v1, 31, v1
	v_and_b32_e32 v3, v3, v4
	v_xor_b32_e32 v4, vcc_hi, v1
	v_xor_b32_e32 v1, vcc_lo, v1
	; wave barrier
	ds_read_b32 v28, v29 offset:16
	v_and_b32_e32 v2, v2, v30
	v_and_b32_e32 v1, v3, v1
	;; [unrolled: 1-line block ×3, first 2 shown]
	v_mbcnt_lo_u32_b32 v3, v1, 0
	v_mbcnt_hi_u32_b32 v30, v2, v3
	v_cmp_ne_u64_e32 vcc, 0, v[1:2]
	v_cmp_eq_u32_e64 s[34:35], 0, v30
	s_and_b64 s[40:41], vcc, s[34:35]
	; wave barrier
	s_and_saveexec_b64 s[34:35], s[40:41]
	s_cbranch_execz .LBB53_24
; %bb.23:                               ;   in Loop: Header=BB53_6 Depth=2
	v_bcnt_u32_b32 v1, v1, 0
	v_bcnt_u32_b32 v1, v2, v1
	s_waitcnt lgkmcnt(0)
	v_add_u32_e32 v1, v28, v1
	ds_write_b32 v29, v1 offset:16
.LBB53_24:                              ;   in Loop: Header=BB53_6 Depth=2
	s_or_b64 exec, exec, s[34:35]
	v_lshrrev_b64 v[1:2], v43, v[53:54]
	v_lshlrev_b32_e32 v2, 4, v1
	v_and_b32_e32 v2, 0xff0, v2
	v_add_u32_e32 v32, v99, v2
	v_and_b32_e32 v2, 1, v1
	v_add_co_u32_e32 v3, vcc, -1, v2
	v_addc_co_u32_e64 v4, s[34:35], 0, -1, vcc
	v_cmp_ne_u32_e32 vcc, 0, v2
	v_lshlrev_b32_e32 v36, 30, v1
	v_xor_b32_e32 v2, vcc_hi, v4
	v_xor_b32_e32 v3, vcc_lo, v3
	v_cmp_gt_i64_e32 vcc, 0, v[35:36]
	v_not_b32_e32 v4, v36
	v_ashrrev_i32_e32 v4, 31, v4
	v_and_b32_e32 v2, exec_hi, v2
	v_xor_b32_e32 v36, vcc_hi, v4
	v_and_b32_e32 v3, exec_lo, v3
	v_xor_b32_e32 v4, vcc_lo, v4
	v_and_b32_e32 v2, v2, v36
	v_lshlrev_b32_e32 v36, 29, v1
	v_and_b32_e32 v3, v3, v4
	v_cmp_gt_i64_e32 vcc, 0, v[35:36]
	v_not_b32_e32 v4, v36
	v_ashrrev_i32_e32 v4, 31, v4
	v_xor_b32_e32 v36, vcc_hi, v4
	v_xor_b32_e32 v4, vcc_lo, v4
	v_and_b32_e32 v2, v2, v36
	v_lshlrev_b32_e32 v36, 28, v1
	v_and_b32_e32 v3, v3, v4
	v_cmp_gt_i64_e32 vcc, 0, v[35:36]
	v_not_b32_e32 v4, v36
	v_ashrrev_i32_e32 v4, 31, v4
	v_xor_b32_e32 v36, vcc_hi, v4
	;; [unrolled: 8-line block ×5, first 2 shown]
	v_and_b32_e32 v2, v2, v36
	v_lshlrev_b32_e32 v36, 24, v1
	v_xor_b32_e32 v4, vcc_lo, v4
	v_cmp_gt_i64_e32 vcc, 0, v[35:36]
	v_not_b32_e32 v1, v36
	v_ashrrev_i32_e32 v1, 31, v1
	v_and_b32_e32 v3, v3, v4
	v_xor_b32_e32 v4, vcc_hi, v1
	v_xor_b32_e32 v1, vcc_lo, v1
	; wave barrier
	ds_read_b32 v31, v32 offset:16
	v_and_b32_e32 v1, v3, v1
	v_and_b32_e32 v2, v2, v4
	v_mbcnt_lo_u32_b32 v3, v1, 0
	v_mbcnt_hi_u32_b32 v102, v2, v3
	v_cmp_ne_u64_e32 vcc, 0, v[1:2]
	v_cmp_eq_u32_e64 s[34:35], 0, v102
	s_and_b64 s[40:41], vcc, s[34:35]
	; wave barrier
	s_and_saveexec_b64 s[34:35], s[40:41]
	s_cbranch_execz .LBB53_26
; %bb.25:                               ;   in Loop: Header=BB53_6 Depth=2
	v_bcnt_u32_b32 v1, v1, 0
	v_bcnt_u32_b32 v1, v2, v1
	s_waitcnt lgkmcnt(0)
	v_add_u32_e32 v1, v31, v1
	ds_write_b32 v32, v1 offset:16
.LBB53_26:                              ;   in Loop: Header=BB53_6 Depth=2
	s_or_b64 exec, exec, s[34:35]
	v_lshrrev_b64 v[1:2], v43, v[51:52]
	v_lshlrev_b32_e32 v2, 4, v1
	v_and_b32_e32 v2, 0xff0, v2
	v_add_u32_e32 v104, v99, v2
	v_and_b32_e32 v2, 1, v1
	v_add_co_u32_e32 v3, vcc, -1, v2
	v_addc_co_u32_e64 v4, s[34:35], 0, -1, vcc
	v_cmp_ne_u32_e32 vcc, 0, v2
	v_lshlrev_b32_e32 v36, 30, v1
	v_xor_b32_e32 v2, vcc_hi, v4
	v_xor_b32_e32 v3, vcc_lo, v3
	v_cmp_gt_i64_e32 vcc, 0, v[35:36]
	v_not_b32_e32 v4, v36
	v_ashrrev_i32_e32 v4, 31, v4
	v_and_b32_e32 v2, exec_hi, v2
	v_xor_b32_e32 v36, vcc_hi, v4
	v_and_b32_e32 v3, exec_lo, v3
	v_xor_b32_e32 v4, vcc_lo, v4
	v_and_b32_e32 v2, v2, v36
	v_lshlrev_b32_e32 v36, 29, v1
	v_and_b32_e32 v3, v3, v4
	v_cmp_gt_i64_e32 vcc, 0, v[35:36]
	v_not_b32_e32 v4, v36
	v_ashrrev_i32_e32 v4, 31, v4
	v_xor_b32_e32 v36, vcc_hi, v4
	v_xor_b32_e32 v4, vcc_lo, v4
	v_and_b32_e32 v2, v2, v36
	v_lshlrev_b32_e32 v36, 28, v1
	v_and_b32_e32 v3, v3, v4
	v_cmp_gt_i64_e32 vcc, 0, v[35:36]
	v_not_b32_e32 v4, v36
	v_ashrrev_i32_e32 v4, 31, v4
	v_xor_b32_e32 v36, vcc_hi, v4
	;; [unrolled: 8-line block ×5, first 2 shown]
	v_and_b32_e32 v2, v2, v36
	v_lshlrev_b32_e32 v36, 24, v1
	v_xor_b32_e32 v4, vcc_lo, v4
	v_cmp_gt_i64_e32 vcc, 0, v[35:36]
	v_not_b32_e32 v1, v36
	v_ashrrev_i32_e32 v1, 31, v1
	v_and_b32_e32 v3, v3, v4
	v_xor_b32_e32 v4, vcc_hi, v1
	v_xor_b32_e32 v1, vcc_lo, v1
	; wave barrier
	ds_read_b32 v103, v104 offset:16
	v_and_b32_e32 v1, v3, v1
	v_and_b32_e32 v2, v2, v4
	v_mbcnt_lo_u32_b32 v3, v1, 0
	v_mbcnt_hi_u32_b32 v105, v2, v3
	v_cmp_ne_u64_e32 vcc, 0, v[1:2]
	v_cmp_eq_u32_e64 s[34:35], 0, v105
	s_and_b64 s[40:41], vcc, s[34:35]
	; wave barrier
	s_and_saveexec_b64 s[34:35], s[40:41]
	s_cbranch_execz .LBB53_28
; %bb.27:                               ;   in Loop: Header=BB53_6 Depth=2
	v_bcnt_u32_b32 v1, v1, 0
	v_bcnt_u32_b32 v1, v2, v1
	s_waitcnt lgkmcnt(0)
	v_add_u32_e32 v1, v103, v1
	ds_write_b32 v104, v1 offset:16
.LBB53_28:                              ;   in Loop: Header=BB53_6 Depth=2
	s_or_b64 exec, exec, s[34:35]
	v_lshrrev_b64 v[1:2], v43, v[49:50]
	v_lshlrev_b32_e32 v2, 4, v1
	v_and_b32_e32 v2, 0xff0, v2
	v_add_u32_e32 v107, v99, v2
	v_and_b32_e32 v2, 1, v1
	v_add_co_u32_e32 v3, vcc, -1, v2
	v_addc_co_u32_e64 v4, s[34:35], 0, -1, vcc
	v_cmp_ne_u32_e32 vcc, 0, v2
	v_lshlrev_b32_e32 v36, 30, v1
	v_xor_b32_e32 v2, vcc_hi, v4
	v_xor_b32_e32 v3, vcc_lo, v3
	v_cmp_gt_i64_e32 vcc, 0, v[35:36]
	v_not_b32_e32 v4, v36
	v_ashrrev_i32_e32 v4, 31, v4
	v_and_b32_e32 v2, exec_hi, v2
	v_xor_b32_e32 v36, vcc_hi, v4
	v_and_b32_e32 v3, exec_lo, v3
	v_xor_b32_e32 v4, vcc_lo, v4
	v_and_b32_e32 v2, v2, v36
	v_lshlrev_b32_e32 v36, 29, v1
	v_and_b32_e32 v3, v3, v4
	v_cmp_gt_i64_e32 vcc, 0, v[35:36]
	v_not_b32_e32 v4, v36
	v_ashrrev_i32_e32 v4, 31, v4
	v_xor_b32_e32 v36, vcc_hi, v4
	v_xor_b32_e32 v4, vcc_lo, v4
	v_and_b32_e32 v2, v2, v36
	v_lshlrev_b32_e32 v36, 28, v1
	v_and_b32_e32 v3, v3, v4
	v_cmp_gt_i64_e32 vcc, 0, v[35:36]
	v_not_b32_e32 v4, v36
	v_ashrrev_i32_e32 v4, 31, v4
	v_xor_b32_e32 v36, vcc_hi, v4
	;; [unrolled: 8-line block ×5, first 2 shown]
	v_and_b32_e32 v2, v2, v36
	v_lshlrev_b32_e32 v36, 24, v1
	v_xor_b32_e32 v4, vcc_lo, v4
	v_cmp_gt_i64_e32 vcc, 0, v[35:36]
	v_not_b32_e32 v1, v36
	v_ashrrev_i32_e32 v1, 31, v1
	v_and_b32_e32 v3, v3, v4
	v_xor_b32_e32 v4, vcc_hi, v1
	v_xor_b32_e32 v1, vcc_lo, v1
	; wave barrier
	ds_read_b32 v106, v107 offset:16
	v_and_b32_e32 v1, v3, v1
	v_and_b32_e32 v2, v2, v4
	v_mbcnt_lo_u32_b32 v3, v1, 0
	v_mbcnt_hi_u32_b32 v108, v2, v3
	v_cmp_ne_u64_e32 vcc, 0, v[1:2]
	v_cmp_eq_u32_e64 s[34:35], 0, v108
	s_and_b64 s[40:41], vcc, s[34:35]
	; wave barrier
	s_and_saveexec_b64 s[34:35], s[40:41]
	s_cbranch_execz .LBB53_30
; %bb.29:                               ;   in Loop: Header=BB53_6 Depth=2
	v_bcnt_u32_b32 v1, v1, 0
	v_bcnt_u32_b32 v1, v2, v1
	s_waitcnt lgkmcnt(0)
	v_add_u32_e32 v1, v106, v1
	ds_write_b32 v107, v1 offset:16
.LBB53_30:                              ;   in Loop: Header=BB53_6 Depth=2
	s_or_b64 exec, exec, s[34:35]
	v_lshrrev_b64 v[1:2], v43, v[47:48]
	v_lshlrev_b32_e32 v2, 4, v1
	v_and_b32_e32 v2, 0xff0, v2
	v_add_u32_e32 v110, v99, v2
	v_and_b32_e32 v2, 1, v1
	v_add_co_u32_e32 v3, vcc, -1, v2
	v_addc_co_u32_e64 v4, s[34:35], 0, -1, vcc
	v_cmp_ne_u32_e32 vcc, 0, v2
	v_lshlrev_b32_e32 v36, 30, v1
	v_xor_b32_e32 v2, vcc_hi, v4
	v_xor_b32_e32 v3, vcc_lo, v3
	v_cmp_gt_i64_e32 vcc, 0, v[35:36]
	v_not_b32_e32 v4, v36
	v_ashrrev_i32_e32 v4, 31, v4
	v_and_b32_e32 v2, exec_hi, v2
	v_xor_b32_e32 v36, vcc_hi, v4
	v_and_b32_e32 v3, exec_lo, v3
	v_xor_b32_e32 v4, vcc_lo, v4
	v_and_b32_e32 v2, v2, v36
	v_lshlrev_b32_e32 v36, 29, v1
	v_and_b32_e32 v3, v3, v4
	v_cmp_gt_i64_e32 vcc, 0, v[35:36]
	v_not_b32_e32 v4, v36
	v_ashrrev_i32_e32 v4, 31, v4
	v_xor_b32_e32 v36, vcc_hi, v4
	v_xor_b32_e32 v4, vcc_lo, v4
	v_and_b32_e32 v2, v2, v36
	v_lshlrev_b32_e32 v36, 28, v1
	v_and_b32_e32 v3, v3, v4
	v_cmp_gt_i64_e32 vcc, 0, v[35:36]
	v_not_b32_e32 v4, v36
	v_ashrrev_i32_e32 v4, 31, v4
	v_xor_b32_e32 v36, vcc_hi, v4
	;; [unrolled: 8-line block ×5, first 2 shown]
	v_and_b32_e32 v2, v2, v36
	v_lshlrev_b32_e32 v36, 24, v1
	v_xor_b32_e32 v4, vcc_lo, v4
	v_cmp_gt_i64_e32 vcc, 0, v[35:36]
	v_not_b32_e32 v1, v36
	v_ashrrev_i32_e32 v1, 31, v1
	v_and_b32_e32 v3, v3, v4
	v_xor_b32_e32 v4, vcc_hi, v1
	v_xor_b32_e32 v1, vcc_lo, v1
	; wave barrier
	ds_read_b32 v109, v110 offset:16
	v_and_b32_e32 v1, v3, v1
	v_and_b32_e32 v2, v2, v4
	v_mbcnt_lo_u32_b32 v3, v1, 0
	v_mbcnt_hi_u32_b32 v111, v2, v3
	v_cmp_ne_u64_e32 vcc, 0, v[1:2]
	v_cmp_eq_u32_e64 s[34:35], 0, v111
	s_and_b64 s[40:41], vcc, s[34:35]
	; wave barrier
	s_and_saveexec_b64 s[34:35], s[40:41]
	s_cbranch_execz .LBB53_32
; %bb.31:                               ;   in Loop: Header=BB53_6 Depth=2
	v_bcnt_u32_b32 v1, v1, 0
	v_bcnt_u32_b32 v1, v2, v1
	s_waitcnt lgkmcnt(0)
	v_add_u32_e32 v1, v109, v1
	ds_write_b32 v110, v1 offset:16
.LBB53_32:                              ;   in Loop: Header=BB53_6 Depth=2
	s_or_b64 exec, exec, s[34:35]
	v_lshrrev_b64 v[1:2], v43, v[45:46]
	v_lshlrev_b32_e32 v2, 4, v1
	v_and_b32_e32 v2, 0xff0, v2
	v_add_u32_e32 v113, v99, v2
	v_and_b32_e32 v2, 1, v1
	v_add_co_u32_e32 v3, vcc, -1, v2
	v_addc_co_u32_e64 v4, s[34:35], 0, -1, vcc
	v_cmp_ne_u32_e32 vcc, 0, v2
	v_lshlrev_b32_e32 v36, 30, v1
	v_xor_b32_e32 v2, vcc_hi, v4
	v_xor_b32_e32 v3, vcc_lo, v3
	v_cmp_gt_i64_e32 vcc, 0, v[35:36]
	v_not_b32_e32 v4, v36
	v_ashrrev_i32_e32 v4, 31, v4
	v_and_b32_e32 v2, exec_hi, v2
	v_xor_b32_e32 v36, vcc_hi, v4
	v_and_b32_e32 v3, exec_lo, v3
	v_xor_b32_e32 v4, vcc_lo, v4
	v_and_b32_e32 v2, v2, v36
	v_lshlrev_b32_e32 v36, 29, v1
	v_and_b32_e32 v3, v3, v4
	v_cmp_gt_i64_e32 vcc, 0, v[35:36]
	v_not_b32_e32 v4, v36
	v_ashrrev_i32_e32 v4, 31, v4
	v_xor_b32_e32 v36, vcc_hi, v4
	v_xor_b32_e32 v4, vcc_lo, v4
	v_and_b32_e32 v2, v2, v36
	v_lshlrev_b32_e32 v36, 28, v1
	v_and_b32_e32 v3, v3, v4
	v_cmp_gt_i64_e32 vcc, 0, v[35:36]
	v_not_b32_e32 v4, v36
	v_ashrrev_i32_e32 v4, 31, v4
	v_xor_b32_e32 v36, vcc_hi, v4
	;; [unrolled: 8-line block ×5, first 2 shown]
	v_and_b32_e32 v2, v2, v36
	v_lshlrev_b32_e32 v36, 24, v1
	v_xor_b32_e32 v4, vcc_lo, v4
	v_cmp_gt_i64_e32 vcc, 0, v[35:36]
	v_not_b32_e32 v1, v36
	v_ashrrev_i32_e32 v1, 31, v1
	v_and_b32_e32 v3, v3, v4
	v_xor_b32_e32 v4, vcc_hi, v1
	v_xor_b32_e32 v1, vcc_lo, v1
	; wave barrier
	ds_read_b32 v112, v113 offset:16
	v_and_b32_e32 v1, v3, v1
	v_and_b32_e32 v2, v2, v4
	v_mbcnt_lo_u32_b32 v3, v1, 0
	v_mbcnt_hi_u32_b32 v114, v2, v3
	v_cmp_ne_u64_e32 vcc, 0, v[1:2]
	v_cmp_eq_u32_e64 s[34:35], 0, v114
	s_and_b64 s[40:41], vcc, s[34:35]
	; wave barrier
	s_and_saveexec_b64 s[34:35], s[40:41]
	s_cbranch_execz .LBB53_34
; %bb.33:                               ;   in Loop: Header=BB53_6 Depth=2
	v_bcnt_u32_b32 v1, v1, 0
	v_bcnt_u32_b32 v1, v2, v1
	s_waitcnt lgkmcnt(0)
	v_add_u32_e32 v1, v112, v1
	ds_write_b32 v113, v1 offset:16
.LBB53_34:                              ;   in Loop: Header=BB53_6 Depth=2
	s_or_b64 exec, exec, s[34:35]
	v_lshrrev_b64 v[1:2], v43, v[41:42]
	v_lshlrev_b32_e32 v2, 4, v1
	v_and_b32_e32 v2, 0xff0, v2
	v_add_u32_e32 v116, v99, v2
	v_and_b32_e32 v2, 1, v1
	v_add_co_u32_e32 v3, vcc, -1, v2
	v_addc_co_u32_e64 v4, s[34:35], 0, -1, vcc
	v_cmp_ne_u32_e32 vcc, 0, v2
	v_lshlrev_b32_e32 v36, 30, v1
	v_xor_b32_e32 v2, vcc_hi, v4
	v_xor_b32_e32 v3, vcc_lo, v3
	v_cmp_gt_i64_e32 vcc, 0, v[35:36]
	v_not_b32_e32 v4, v36
	v_ashrrev_i32_e32 v4, 31, v4
	v_and_b32_e32 v2, exec_hi, v2
	v_xor_b32_e32 v36, vcc_hi, v4
	v_and_b32_e32 v3, exec_lo, v3
	v_xor_b32_e32 v4, vcc_lo, v4
	v_and_b32_e32 v2, v2, v36
	v_lshlrev_b32_e32 v36, 29, v1
	v_and_b32_e32 v3, v3, v4
	v_cmp_gt_i64_e32 vcc, 0, v[35:36]
	v_not_b32_e32 v4, v36
	v_ashrrev_i32_e32 v4, 31, v4
	v_xor_b32_e32 v36, vcc_hi, v4
	v_xor_b32_e32 v4, vcc_lo, v4
	v_and_b32_e32 v2, v2, v36
	v_lshlrev_b32_e32 v36, 28, v1
	v_and_b32_e32 v3, v3, v4
	v_cmp_gt_i64_e32 vcc, 0, v[35:36]
	v_not_b32_e32 v4, v36
	v_ashrrev_i32_e32 v4, 31, v4
	v_xor_b32_e32 v36, vcc_hi, v4
	;; [unrolled: 8-line block ×5, first 2 shown]
	v_and_b32_e32 v2, v2, v36
	v_lshlrev_b32_e32 v36, 24, v1
	v_xor_b32_e32 v4, vcc_lo, v4
	v_cmp_gt_i64_e32 vcc, 0, v[35:36]
	v_not_b32_e32 v1, v36
	v_ashrrev_i32_e32 v1, 31, v1
	v_and_b32_e32 v3, v3, v4
	v_xor_b32_e32 v4, vcc_hi, v1
	v_xor_b32_e32 v1, vcc_lo, v1
	; wave barrier
	ds_read_b32 v115, v116 offset:16
	v_and_b32_e32 v1, v3, v1
	v_and_b32_e32 v2, v2, v4
	v_mbcnt_lo_u32_b32 v3, v1, 0
	v_mbcnt_hi_u32_b32 v117, v2, v3
	v_cmp_ne_u64_e32 vcc, 0, v[1:2]
	v_cmp_eq_u32_e64 s[34:35], 0, v117
	s_and_b64 s[40:41], vcc, s[34:35]
	; wave barrier
	s_and_saveexec_b64 s[34:35], s[40:41]
	s_cbranch_execz .LBB53_36
; %bb.35:                               ;   in Loop: Header=BB53_6 Depth=2
	v_bcnt_u32_b32 v1, v1, 0
	v_bcnt_u32_b32 v1, v2, v1
	s_waitcnt lgkmcnt(0)
	v_add_u32_e32 v1, v115, v1
	ds_write_b32 v116, v1 offset:16
.LBB53_36:                              ;   in Loop: Header=BB53_6 Depth=2
	s_or_b64 exec, exec, s[34:35]
	v_lshrrev_b64 v[1:2], v43, v[33:34]
	v_lshlrev_b32_e32 v2, 4, v1
	v_and_b32_e32 v2, 0xff0, v2
	v_add_u32_e32 v119, v99, v2
	v_and_b32_e32 v2, 1, v1
	v_add_co_u32_e32 v3, vcc, -1, v2
	v_addc_co_u32_e64 v4, s[34:35], 0, -1, vcc
	v_cmp_ne_u32_e32 vcc, 0, v2
	v_lshlrev_b32_e32 v36, 30, v1
	v_xor_b32_e32 v2, vcc_hi, v4
	v_xor_b32_e32 v3, vcc_lo, v3
	v_cmp_gt_i64_e32 vcc, 0, v[35:36]
	v_not_b32_e32 v4, v36
	v_ashrrev_i32_e32 v4, 31, v4
	v_and_b32_e32 v2, exec_hi, v2
	v_xor_b32_e32 v36, vcc_hi, v4
	v_and_b32_e32 v3, exec_lo, v3
	v_xor_b32_e32 v4, vcc_lo, v4
	v_and_b32_e32 v2, v2, v36
	v_lshlrev_b32_e32 v36, 29, v1
	v_and_b32_e32 v3, v3, v4
	v_cmp_gt_i64_e32 vcc, 0, v[35:36]
	v_not_b32_e32 v4, v36
	v_ashrrev_i32_e32 v4, 31, v4
	v_xor_b32_e32 v36, vcc_hi, v4
	v_xor_b32_e32 v4, vcc_lo, v4
	v_and_b32_e32 v2, v2, v36
	v_lshlrev_b32_e32 v36, 28, v1
	v_and_b32_e32 v3, v3, v4
	v_cmp_gt_i64_e32 vcc, 0, v[35:36]
	v_not_b32_e32 v4, v36
	v_ashrrev_i32_e32 v4, 31, v4
	v_xor_b32_e32 v36, vcc_hi, v4
	;; [unrolled: 8-line block ×5, first 2 shown]
	v_and_b32_e32 v2, v2, v36
	v_lshlrev_b32_e32 v36, 24, v1
	v_xor_b32_e32 v4, vcc_lo, v4
	v_cmp_gt_i64_e32 vcc, 0, v[35:36]
	v_not_b32_e32 v1, v36
	v_ashrrev_i32_e32 v1, 31, v1
	v_and_b32_e32 v3, v3, v4
	v_xor_b32_e32 v4, vcc_hi, v1
	v_xor_b32_e32 v1, vcc_lo, v1
	; wave barrier
	ds_read_b32 v118, v119 offset:16
	v_and_b32_e32 v1, v3, v1
	v_and_b32_e32 v2, v2, v4
	v_mbcnt_lo_u32_b32 v3, v1, 0
	v_mbcnt_hi_u32_b32 v127, v2, v3
	v_cmp_ne_u64_e32 vcc, 0, v[1:2]
	v_cmp_eq_u32_e64 s[34:35], 0, v127
	s_and_b64 s[40:41], vcc, s[34:35]
	; wave barrier
	s_and_saveexec_b64 s[34:35], s[40:41]
	s_cbranch_execz .LBB53_38
; %bb.37:                               ;   in Loop: Header=BB53_6 Depth=2
	v_bcnt_u32_b32 v1, v1, 0
	v_bcnt_u32_b32 v1, v2, v1
	s_waitcnt lgkmcnt(0)
	v_add_u32_e32 v1, v118, v1
	ds_write_b32 v119, v1 offset:16
.LBB53_38:                              ;   in Loop: Header=BB53_6 Depth=2
	s_or_b64 exec, exec, s[34:35]
	; wave barrier
	s_waitcnt lgkmcnt(0)
	s_barrier
	ds_read2_b64 v[1:4], v73 offset0:2 offset1:3
	s_waitcnt lgkmcnt(0)
	v_add_u32_e32 v36, v2, v1
	v_add3_u32 v4, v36, v3, v4
	s_nop 1
	v_mov_b32_dpp v36, v4 row_shr:1 row_mask:0xf bank_mask:0xf
	v_cndmask_b32_e64 v36, v36, 0, s[2:3]
	v_add_u32_e32 v4, v36, v4
	s_nop 1
	v_mov_b32_dpp v36, v4 row_shr:2 row_mask:0xf bank_mask:0xf
	v_cndmask_b32_e64 v36, 0, v36, s[4:5]
	v_add_u32_e32 v4, v4, v36
	;; [unrolled: 4-line block ×4, first 2 shown]
	s_nop 1
	v_mov_b32_dpp v36, v4 row_bcast:15 row_mask:0xf bank_mask:0xf
	v_cndmask_b32_e64 v36, v36, 0, s[10:11]
	v_add_u32_e32 v4, v4, v36
	s_nop 1
	v_mov_b32_dpp v36, v4 row_bcast:31 row_mask:0xf bank_mask:0xf
	v_cndmask_b32_e64 v36, 0, v36, s[12:13]
	v_add_u32_e32 v4, v4, v36
	s_and_saveexec_b64 s[34:35], s[14:15]
; %bb.39:                               ;   in Loop: Header=BB53_6 Depth=2
	ds_write_b32 v77, v4
; %bb.40:                               ;   in Loop: Header=BB53_6 Depth=2
	s_or_b64 exec, exec, s[34:35]
	s_waitcnt lgkmcnt(0)
	s_barrier
	s_and_saveexec_b64 s[34:35], s[16:17]
	s_cbranch_execz .LBB53_42
; %bb.41:                               ;   in Loop: Header=BB53_6 Depth=2
	ds_read_b32 v36, v78
	s_waitcnt lgkmcnt(0)
	s_nop 0
	v_mov_b32_dpp v120, v36 row_shr:1 row_mask:0xf bank_mask:0xf
	v_cndmask_b32_e64 v120, v120, 0, s[26:27]
	v_add_u32_e32 v36, v120, v36
	s_nop 1
	v_mov_b32_dpp v120, v36 row_shr:2 row_mask:0xf bank_mask:0xf
	v_cndmask_b32_e64 v120, 0, v120, s[28:29]
	v_add_u32_e32 v36, v36, v120
	ds_write_b32 v78, v36
.LBB53_42:                              ;   in Loop: Header=BB53_6 Depth=2
	s_or_b64 exec, exec, s[34:35]
	v_mov_b32_e32 v36, 0
	s_waitcnt lgkmcnt(0)
	s_barrier
	s_and_saveexec_b64 s[34:35], s[18:19]
; %bb.43:                               ;   in Loop: Header=BB53_6 Depth=2
	ds_read_b32 v36, v79
; %bb.44:                               ;   in Loop: Header=BB53_6 Depth=2
	s_or_b64 exec, exec, s[34:35]
	s_waitcnt lgkmcnt(0)
	v_add_u32_e32 v4, v36, v4
	ds_bpermute_b32 v4, v76, v4
	v_cmp_lt_u32_e32 vcc, 55, v43
	s_and_b64 vcc, exec, vcc
	s_mov_b64 s[34:35], -1
	s_waitcnt lgkmcnt(0)
	v_cndmask_b32_e64 v4, v4, v36, s[20:21]
	v_cndmask_b32_e64 v120, v4, 0, s[22:23]
	v_add_u32_e32 v121, v120, v1
	v_add_u32_e32 v1, v121, v2
	;; [unrolled: 1-line block ×3, first 2 shown]
	ds_write2_b64 v73, v[120:121], v[1:2] offset0:2 offset1:3
	s_waitcnt lgkmcnt(0)
	s_barrier
	ds_read_b32 v1, v5 offset:16
	ds_read_b32 v2, v8 offset:16
	;; [unrolled: 1-line block ×8, first 2 shown]
	s_waitcnt lgkmcnt(7)
	v_add_u32_e32 v126, v1, v6
	s_waitcnt lgkmcnt(6)
	v_add3_u32 v125, v9, v7, v2
	s_waitcnt lgkmcnt(5)
	v_add3_u32 v124, v12, v10, v3
	;; [unrolled: 2-line block ×5, first 2 shown]
	ds_read_b32 v1, v29 offset:16
	ds_read_b32 v2, v32 offset:16
	ds_read_b32 v3, v104 offset:16
	ds_read_b32 v4, v107 offset:16
	ds_read_b32 v5, v110 offset:16
	ds_read_b32 v6, v113 offset:16
	ds_read_b32 v7, v116 offset:16
	ds_read_b32 v8, v119 offset:16
	s_waitcnt lgkmcnt(9)
	v_add3_u32 v120, v24, v22, v11
	s_waitcnt lgkmcnt(8)
	v_add3_u32 v36, v27, v25, v14
	;; [unrolled: 2-line block ×10, first 2 shown]
                                        ; implicit-def: $vgpr1_vgpr2
                                        ; implicit-def: $vgpr5_vgpr6
                                        ; implicit-def: $vgpr9_vgpr10
                                        ; implicit-def: $vgpr13_vgpr14
                                        ; implicit-def: $vgpr17_vgpr18
                                        ; implicit-def: $vgpr21_vgpr22
                                        ; implicit-def: $vgpr25_vgpr26
                                        ; implicit-def: $vgpr29_vgpr30
	s_cbranch_vccnz .LBB53_5
; %bb.45:                               ;   in Loop: Header=BB53_6 Depth=2
	v_lshlrev_b32_e32 v1, 3, v126
	s_barrier
	ds_write_b64 v1, v[71:72]
	v_lshlrev_b32_e32 v1, 3, v125
	ds_write_b64 v1, v[69:70]
	v_lshlrev_b32_e32 v1, 3, v124
	;; [unrolled: 2-line block ×15, first 2 shown]
	ds_write_b64 v1, v[33:34]
	s_waitcnt lgkmcnt(0)
	s_barrier
	ds_read2st64_b64 v[1:4], v75 offset1:1
	ds_read2st64_b64 v[5:8], v75 offset0:2 offset1:3
	ds_read2st64_b64 v[9:12], v75 offset0:4 offset1:5
	;; [unrolled: 1-line block ×7, first 2 shown]
	v_add_co_u32_e32 v43, vcc, 8, v43
	v_addc_co_u32_e32 v44, vcc, 0, v44, vcc
	s_mov_b64 s[34:35], 0
	s_waitcnt lgkmcnt(0)
	s_barrier
	s_branch .LBB53_5
.LBB53_46:                              ;   in Loop: Header=BB53_2 Depth=1
	v_lshlrev_b32_e32 v1, 3, v126
	s_barrier
	ds_write_b64 v1, v[71:72]
	v_lshlrev_b32_e32 v1, 3, v125
	ds_write_b64 v1, v[69:70]
	v_lshlrev_b32_e32 v1, 3, v124
	;; [unrolled: 2-line block ×15, first 2 shown]
	ds_write_b64 v1, v[33:34]
	s_waitcnt lgkmcnt(0)
	s_barrier
	ds_read2_b64 v[19:22], v80 offset1:1
	ds_read2_b64 v[7:10], v80 offset0:2 offset1:3
	ds_read2_b64 v[23:26], v80 offset0:12 offset1:13
	;; [unrolled: 1-line block ×7, first 2 shown]
	s_waitcnt lgkmcnt(4)
	v_mov_b32_e32 v1, v15
	v_cmp_ne_u32_e32 vcc, v15, v17
	v_lshlrev_b32_e32 v2, 2, v15
	s_waitcnt lgkmcnt(0)
	s_barrier
	ds_write2st64_b32 v101, v100, v100 offset0:16 offset1:20
	s_waitcnt lgkmcnt(0)
	s_barrier
	ds_write_b64 v81, v[17:18]
	s_and_saveexec_b64 s[34:35], vcc
	s_cbranch_execz .LBB53_48
; %bb.47:                               ;   in Loop: Header=BB53_2 Depth=1
	v_lshlrev_b32_e32 v36, 2, v17
	ds_write_b32 v36, v83 offset:4096
	ds_write_b32 v2, v83 offset:5120
.LBB53_48:                              ;   in Loop: Header=BB53_2 Depth=1
	s_or_b64 exec, exec, s[34:35]
	v_cmp_ne_u32_e32 vcc, v15, v25
	v_lshlrev_b32_e32 v36, 2, v25
	s_and_saveexec_b64 s[34:35], vcc
	s_cbranch_execz .LBB53_50
; %bb.49:                               ;   in Loop: Header=BB53_2 Depth=1
	v_mov_b32_e32 v1, v25
	ds_write_b32 v2, v84 offset:4096
	ds_write_b32 v36, v84 offset:5120
.LBB53_50:                              ;   in Loop: Header=BB53_2 Depth=1
	s_or_b64 exec, exec, s[34:35]
	v_cmp_ne_u32_e32 vcc, v1, v23
	v_lshlrev_b32_e32 v2, 2, v23
	s_and_saveexec_b64 s[34:35], vcc
	s_cbranch_execz .LBB53_52
; %bb.51:                               ;   in Loop: Header=BB53_2 Depth=1
	v_mov_b32_e32 v1, v23
	ds_write_b32 v36, v85 offset:4096
	ds_write_b32 v2, v85 offset:5120
.LBB53_52:                              ;   in Loop: Header=BB53_2 Depth=1
	;; [unrolled: 10-line block ×13, first 2 shown]
	s_or_b64 exec, exec, s[34:35]
	v_cmp_ne_u32_e32 vcc, v1, v19
	v_lshlrev_b32_e32 v1, 2, v19
	s_and_saveexec_b64 s[34:35], vcc
	s_cbranch_execz .LBB53_76
; %bb.75:                               ;   in Loop: Header=BB53_2 Depth=1
	ds_write_b32 v36, v97 offset:4096
	ds_write_b32 v1, v97 offset:5120
.LBB53_76:                              ;   in Loop: Header=BB53_2 Depth=1
	s_or_b64 exec, exec, s[34:35]
	s_waitcnt lgkmcnt(0)
	s_barrier
	s_and_saveexec_b64 s[34:35], s[24:25]
	s_cbranch_execz .LBB53_79
; %bb.77:                               ;   in Loop: Header=BB53_2 Depth=1
	ds_read_b32 v2, v98
	s_waitcnt lgkmcnt(0)
	v_cmp_ne_u32_e32 vcc, v2, v19
	s_and_b64 exec, exec, vcc
	s_cbranch_execz .LBB53_79
; %bb.78:                               ;   in Loop: Header=BB53_2 Depth=1
	ds_write_b32 v1, v73 offset:4096
	ds_read_b32 v2, v98
	s_waitcnt lgkmcnt(0)
	v_lshlrev_b32_e32 v2, 2, v2
	ds_write_b32 v2, v73 offset:5120
.LBB53_79:                              ;   in Loop: Header=BB53_2 Depth=1
	s_or_b64 exec, exec, s[34:35]
	s_waitcnt lgkmcnt(0)
	s_barrier
	s_and_saveexec_b64 s[34:35], s[22:23]
	s_cbranch_execz .LBB53_1
; %bb.80:                               ;   in Loop: Header=BB53_2 Depth=1
	ds_write_b32 v1, v35 offset:4096
	s_branch .LBB53_1
.LBB53_81:
	v_lshl_or_b32 v3, s6, 8, v0
	v_mov_b32_e32 v4, 0
	v_lshlrev_b64 v[3:4], 3, v[3:4]
	v_mov_b32_e32 v0, s39
	v_add_co_u32_e32 v3, vcc, s38, v3
	v_addc_co_u32_e32 v4, vcc, v0, v4, vcc
	global_store_dwordx2 v[3:4], v[1:2], off
	s_endpgm
	.section	.rodata,"a",@progbits
	.p2align	6, 0x0
	.amdhsa_kernel _Z6kernelI9histogramILN6hipcub23BlockHistogramAlgorithmE1EEyLj256ELj16ELj256ELj100EEvPKT0_PS4_
		.amdhsa_group_segment_fixed_size 34816
		.amdhsa_private_segment_fixed_size 0
		.amdhsa_kernarg_size 272
		.amdhsa_user_sgpr_count 6
		.amdhsa_user_sgpr_private_segment_buffer 1
		.amdhsa_user_sgpr_dispatch_ptr 0
		.amdhsa_user_sgpr_queue_ptr 0
		.amdhsa_user_sgpr_kernarg_segment_ptr 1
		.amdhsa_user_sgpr_dispatch_id 0
		.amdhsa_user_sgpr_flat_scratch_init 0
		.amdhsa_user_sgpr_private_segment_size 0
		.amdhsa_uses_dynamic_stack 0
		.amdhsa_system_sgpr_private_segment_wavefront_offset 0
		.amdhsa_system_sgpr_workgroup_id_x 1
		.amdhsa_system_sgpr_workgroup_id_y 0
		.amdhsa_system_sgpr_workgroup_id_z 0
		.amdhsa_system_sgpr_workgroup_info 0
		.amdhsa_system_vgpr_workitem_id 2
		.amdhsa_next_free_vgpr 129
		.amdhsa_next_free_sgpr 98
		.amdhsa_reserve_vcc 1
		.amdhsa_reserve_flat_scratch 0
		.amdhsa_float_round_mode_32 0
		.amdhsa_float_round_mode_16_64 0
		.amdhsa_float_denorm_mode_32 3
		.amdhsa_float_denorm_mode_16_64 3
		.amdhsa_dx10_clamp 1
		.amdhsa_ieee_mode 1
		.amdhsa_fp16_overflow 0
		.amdhsa_exception_fp_ieee_invalid_op 0
		.amdhsa_exception_fp_denorm_src 0
		.amdhsa_exception_fp_ieee_div_zero 0
		.amdhsa_exception_fp_ieee_overflow 0
		.amdhsa_exception_fp_ieee_underflow 0
		.amdhsa_exception_fp_ieee_inexact 0
		.amdhsa_exception_int_div_zero 0
	.end_amdhsa_kernel
	.section	.text._Z6kernelI9histogramILN6hipcub23BlockHistogramAlgorithmE1EEyLj256ELj16ELj256ELj100EEvPKT0_PS4_,"axG",@progbits,_Z6kernelI9histogramILN6hipcub23BlockHistogramAlgorithmE1EEyLj256ELj16ELj256ELj100EEvPKT0_PS4_,comdat
.Lfunc_end53:
	.size	_Z6kernelI9histogramILN6hipcub23BlockHistogramAlgorithmE1EEyLj256ELj16ELj256ELj100EEvPKT0_PS4_, .Lfunc_end53-_Z6kernelI9histogramILN6hipcub23BlockHistogramAlgorithmE1EEyLj256ELj16ELj256ELj100EEvPKT0_PS4_
                                        ; -- End function
	.set _Z6kernelI9histogramILN6hipcub23BlockHistogramAlgorithmE1EEyLj256ELj16ELj256ELj100EEvPKT0_PS4_.num_vgpr, 128
	.set _Z6kernelI9histogramILN6hipcub23BlockHistogramAlgorithmE1EEyLj256ELj16ELj256ELj100EEvPKT0_PS4_.num_agpr, 0
	.set _Z6kernelI9histogramILN6hipcub23BlockHistogramAlgorithmE1EEyLj256ELj16ELj256ELj100EEvPKT0_PS4_.numbered_sgpr, 42
	.set _Z6kernelI9histogramILN6hipcub23BlockHistogramAlgorithmE1EEyLj256ELj16ELj256ELj100EEvPKT0_PS4_.num_named_barrier, 0
	.set _Z6kernelI9histogramILN6hipcub23BlockHistogramAlgorithmE1EEyLj256ELj16ELj256ELj100EEvPKT0_PS4_.private_seg_size, 0
	.set _Z6kernelI9histogramILN6hipcub23BlockHistogramAlgorithmE1EEyLj256ELj16ELj256ELj100EEvPKT0_PS4_.uses_vcc, 1
	.set _Z6kernelI9histogramILN6hipcub23BlockHistogramAlgorithmE1EEyLj256ELj16ELj256ELj100EEvPKT0_PS4_.uses_flat_scratch, 0
	.set _Z6kernelI9histogramILN6hipcub23BlockHistogramAlgorithmE1EEyLj256ELj16ELj256ELj100EEvPKT0_PS4_.has_dyn_sized_stack, 0
	.set _Z6kernelI9histogramILN6hipcub23BlockHistogramAlgorithmE1EEyLj256ELj16ELj256ELj100EEvPKT0_PS4_.has_recursion, 0
	.set _Z6kernelI9histogramILN6hipcub23BlockHistogramAlgorithmE1EEyLj256ELj16ELj256ELj100EEvPKT0_PS4_.has_indirect_call, 0
	.section	.AMDGPU.csdata,"",@progbits
; Kernel info:
; codeLenInByte = 8868
; TotalNumSgprs: 46
; NumVgprs: 128
; ScratchSize: 0
; MemoryBound: 0
; FloatMode: 240
; IeeeMode: 1
; LDSByteSize: 34816 bytes/workgroup (compile time only)
; SGPRBlocks: 12
; VGPRBlocks: 32
; NumSGPRsForWavesPerEU: 102
; NumVGPRsForWavesPerEU: 129
; Occupancy: 1
; WaveLimiterHint : 0
; COMPUTE_PGM_RSRC2:SCRATCH_EN: 0
; COMPUTE_PGM_RSRC2:USER_SGPR: 6
; COMPUTE_PGM_RSRC2:TRAP_HANDLER: 0
; COMPUTE_PGM_RSRC2:TGID_X_EN: 1
; COMPUTE_PGM_RSRC2:TGID_Y_EN: 0
; COMPUTE_PGM_RSRC2:TGID_Z_EN: 0
; COMPUTE_PGM_RSRC2:TIDIG_COMP_CNT: 2
	.section	.text._Z6kernelI9histogramILN6hipcub23BlockHistogramAlgorithmE1EEyLj320ELj1ELj320ELj100EEvPKT0_PS4_,"axG",@progbits,_Z6kernelI9histogramILN6hipcub23BlockHistogramAlgorithmE1EEyLj320ELj1ELj320ELj100EEvPKT0_PS4_,comdat
	.protected	_Z6kernelI9histogramILN6hipcub23BlockHistogramAlgorithmE1EEyLj320ELj1ELj320ELj100EEvPKT0_PS4_ ; -- Begin function _Z6kernelI9histogramILN6hipcub23BlockHistogramAlgorithmE1EEyLj320ELj1ELj320ELj100EEvPKT0_PS4_
	.globl	_Z6kernelI9histogramILN6hipcub23BlockHistogramAlgorithmE1EEyLj320ELj1ELj320ELj100EEvPKT0_PS4_
	.p2align	8
	.type	_Z6kernelI9histogramILN6hipcub23BlockHistogramAlgorithmE1EEyLj320ELj1ELj320ELj100EEvPKT0_PS4_,@function
_Z6kernelI9histogramILN6hipcub23BlockHistogramAlgorithmE1EEyLj320ELj1ELj320ELj100EEvPKT0_PS4_: ; @_Z6kernelI9histogramILN6hipcub23BlockHistogramAlgorithmE1EEyLj320ELj1ELj320ELj100EEvPKT0_PS4_
; %bb.0:
	s_load_dwordx4 s[36:39], s[4:5], 0x0
	s_load_dword s2, s[4:5], 0x1c
	s_mulk_i32 s6, 0x140
	v_mov_b32_e32 v5, 0
	v_add_u32_e32 v3, s6, v0
	v_mov_b32_e32 v4, v5
	v_lshlrev_b64 v[3:4], 3, v[3:4]
	s_waitcnt lgkmcnt(0)
	v_mov_b32_e32 v7, s37
	v_add_co_u32_e32 v6, vcc, s36, v3
	v_addc_co_u32_e32 v7, vcc, v7, v4, vcc
	global_load_dwordx2 v[9:10], v[6:7], off
	s_lshr_b32 s3, s2, 16
	s_and_b32 s2, s2, 0xffff
	v_mad_u32_u24 v1, v2, s3, v1
	v_mad_u64_u32 v[1:2], s[2:3], v1, s2, v[0:1]
	v_mbcnt_lo_u32_b32 v2, -1, 0
	v_mbcnt_hi_u32_b32 v2, -1, v2
	v_and_b32_e32 v6, 15, v2
	v_cmp_eq_u32_e64 s[2:3], 0, v6
	v_cmp_lt_u32_e64 s[4:5], 1, v6
	v_cmp_lt_u32_e64 s[6:7], 3, v6
	;; [unrolled: 1-line block ×3, first 2 shown]
	v_and_b32_e32 v6, 16, v2
	v_cmp_eq_u32_e64 s[10:11], 0, v6
	v_and_b32_e32 v6, 0x1c0, v0
	v_min_u32_e32 v7, 0x100, v6
	v_or_b32_e32 v7, 63, v7
	v_cmp_eq_u32_e64 s[14:15], v0, v7
	v_subrev_co_u32_e64 v7, s[20:21], 1, v2
	v_and_b32_e32 v8, 64, v2
	v_cmp_lt_i32_e32 vcc, v7, v8
	v_cndmask_b32_e32 v7, v7, v2, vcc
	v_lshlrev_b32_e32 v13, 4, v0
	v_lshlrev_b32_e32 v14, 2, v7
	v_lshrrev_b32_e32 v7, 4, v0
	v_lshlrev_b32_e32 v6, 3, v6
	v_cmp_lt_u32_e64 s[12:13], 31, v2
	v_and_b32_e32 v16, 28, v7
	v_mad_i32_i24 v17, v0, -12, v13
	v_and_b32_e32 v7, 7, v2
	v_lshl_add_u32 v19, v2, 3, v6
	v_lshlrev_b32_e32 v2, 2, v0
	s_movk_i32 s0, 0x140
	v_add_u32_e32 v20, v17, v2
	v_mov_b32_e32 v6, 0x1e00
	v_sub_u32_e32 v2, 0, v2
	v_lshrrev_b32_e32 v1, 4, v1
	v_cmp_gt_u32_e64 s[0:1], s0, v0
	s_mov_b32 s33, 0
	v_cmp_gt_u32_e64 s[16:17], 5, v0
	v_cmp_lt_u32_e64 s[18:19], 63, v0
	v_cmp_eq_u32_e64 s[22:23], 0, v0
	v_cmp_ne_u32_e64 s[24:25], 0, v0
	v_cmp_eq_u32_e64 s[26:27], 0, v7
	v_cmp_lt_u32_e64 s[28:29], 1, v7
	v_cmp_lt_u32_e64 s[30:31], 3, v7
	v_add_u32_e32 v18, -4, v16
	v_lshl_add_u32 v15, v0, 3, v6
	v_add_u32_e32 v21, -8, v20
	v_and_b32_e32 v22, 0xffffffc, v1
	v_mov_b32_e32 v23, 0x140
	v_mov_b32_e32 v24, 20
	v_add_u32_e32 v25, v20, v2
	s_branch .LBB54_2
.LBB54_1:                               ;   in Loop: Header=BB54_2 Depth=1
	s_or_b64 exec, exec, s[34:35]
	s_add_i32 s33, s33, 1
	s_cmpk_lg_i32 s33, 0x64
	s_cbranch_scc0 .LBB54_25
.LBB54_2:                               ; =>This Loop Header: Depth=1
                                        ;     Child Loop BB54_6 Depth 2
	s_and_saveexec_b64 s[34:35], s[0:1]
; %bb.3:                                ;   in Loop: Header=BB54_2 Depth=1
	v_mov_b32_e32 v6, v5
	ds_write_b64 v15, v[5:6]
; %bb.4:                                ;   in Loop: Header=BB54_2 Depth=1
	s_or_b64 exec, exec, s[34:35]
	v_mov_b32_e32 v1, 0
	v_mov_b32_e32 v2, 0
	s_waitcnt vmcnt(0) lgkmcnt(0)
	s_barrier
	s_branch .LBB54_6
.LBB54_5:                               ;   in Loop: Header=BB54_6 Depth=2
	s_andn2_b64 vcc, exec, s[34:35]
	s_cbranch_vccz .LBB54_16
.LBB54_6:                               ;   Parent Loop BB54_2 Depth=1
                                        ; =>  This Inner Loop Header: Depth=2
	v_mov_b32_e32 v7, v9
	v_mov_b32_e32 v8, v10
	v_lshrrev_b64 v[9:10], v1, v[7:8]
	v_and_b32_e32 v6, 1, v9
	v_add_co_u32_e32 v10, vcc, -1, v6
	v_addc_co_u32_e64 v12, s[34:35], 0, -1, vcc
	v_cmp_ne_u32_e32 vcc, 0, v6
	v_xor_b32_e32 v6, vcc_hi, v12
	v_and_b32_e32 v12, exec_hi, v6
	v_lshlrev_b32_e32 v6, 30, v9
	v_xor_b32_e32 v10, vcc_lo, v10
	v_cmp_gt_i64_e32 vcc, 0, v[5:6]
	v_not_b32_e32 v6, v6
	v_ashrrev_i32_e32 v6, 31, v6
	v_and_b32_e32 v10, exec_lo, v10
	v_xor_b32_e32 v26, vcc_hi, v6
	v_xor_b32_e32 v6, vcc_lo, v6
	v_and_b32_e32 v10, v10, v6
	v_lshlrev_b32_e32 v6, 29, v9
	v_cmp_gt_i64_e32 vcc, 0, v[5:6]
	v_not_b32_e32 v6, v6
	v_ashrrev_i32_e32 v6, 31, v6
	v_and_b32_e32 v12, v12, v26
	v_xor_b32_e32 v26, vcc_hi, v6
	v_xor_b32_e32 v6, vcc_lo, v6
	v_and_b32_e32 v10, v10, v6
	v_lshlrev_b32_e32 v6, 28, v9
	v_cmp_gt_i64_e32 vcc, 0, v[5:6]
	v_not_b32_e32 v6, v6
	v_ashrrev_i32_e32 v6, 31, v6
	v_and_b32_e32 v12, v12, v26
	;; [unrolled: 8-line block ×5, first 2 shown]
	v_xor_b32_e32 v26, vcc_hi, v6
	v_xor_b32_e32 v6, vcc_lo, v6
	v_and_b32_e32 v12, v12, v26
	v_and_b32_e32 v26, v10, v6
	v_lshlrev_b32_e32 v6, 24, v9
	v_cmp_gt_i64_e32 vcc, 0, v[5:6]
	v_not_b32_e32 v6, v6
	v_ashrrev_i32_e32 v6, 31, v6
	v_mul_u32_u24_sdwa v11, v9, v24 dst_sel:DWORD dst_unused:UNUSED_PAD src0_sel:BYTE_0 src1_sel:DWORD
	v_xor_b32_e32 v9, vcc_hi, v6
	v_xor_b32_e32 v6, vcc_lo, v6
	v_and_b32_e32 v10, v12, v9
	v_and_b32_e32 v9, v26, v6
	v_mbcnt_lo_u32_b32 v6, v9, 0
	v_mbcnt_hi_u32_b32 v6, v10, v6
	v_cmp_ne_u64_e32 vcc, 0, v[9:10]
	v_cmp_eq_u32_e64 s[34:35], 0, v6
	s_and_b64 s[36:37], vcc, s[34:35]
	v_add_u32_e32 v26, v22, v11
	ds_write2_b32 v13, v5, v5 offset0:5 offset1:6
	ds_write2_b32 v13, v5, v5 offset0:7 offset1:8
	s_waitcnt lgkmcnt(0)
	s_barrier
	; wave barrier
	s_and_saveexec_b64 s[34:35], s[36:37]
; %bb.7:                                ;   in Loop: Header=BB54_6 Depth=2
	v_bcnt_u32_b32 v9, v9, 0
	v_bcnt_u32_b32 v9, v10, v9
	ds_write_b32 v26, v9 offset:20
; %bb.8:                                ;   in Loop: Header=BB54_6 Depth=2
	s_or_b64 exec, exec, s[34:35]
	; wave barrier
	s_waitcnt lgkmcnt(0)
	s_barrier
	ds_read2_b32 v[11:12], v13 offset0:5 offset1:6
	ds_read2_b32 v[9:10], v13 offset0:7 offset1:8
	s_waitcnt lgkmcnt(1)
	v_add_u32_e32 v27, v12, v11
	s_waitcnt lgkmcnt(0)
	v_add3_u32 v10, v27, v9, v10
	s_nop 1
	v_mov_b32_dpp v27, v10 row_shr:1 row_mask:0xf bank_mask:0xf
	v_cndmask_b32_e64 v27, v27, 0, s[2:3]
	v_add_u32_e32 v10, v27, v10
	s_nop 1
	v_mov_b32_dpp v27, v10 row_shr:2 row_mask:0xf bank_mask:0xf
	v_cndmask_b32_e64 v27, 0, v27, s[4:5]
	v_add_u32_e32 v10, v10, v27
	;; [unrolled: 4-line block ×4, first 2 shown]
	s_nop 1
	v_mov_b32_dpp v27, v10 row_bcast:15 row_mask:0xf bank_mask:0xf
	v_cndmask_b32_e64 v27, v27, 0, s[10:11]
	v_add_u32_e32 v10, v10, v27
	s_nop 1
	v_mov_b32_dpp v27, v10 row_bcast:31 row_mask:0xf bank_mask:0xf
	v_cndmask_b32_e64 v27, 0, v27, s[12:13]
	v_add_u32_e32 v10, v10, v27
	s_and_saveexec_b64 s[34:35], s[14:15]
; %bb.9:                                ;   in Loop: Header=BB54_6 Depth=2
	ds_write_b32 v16, v10
; %bb.10:                               ;   in Loop: Header=BB54_6 Depth=2
	s_or_b64 exec, exec, s[34:35]
	s_waitcnt lgkmcnt(0)
	s_barrier
	s_and_saveexec_b64 s[34:35], s[16:17]
	s_cbranch_execz .LBB54_12
; %bb.11:                               ;   in Loop: Header=BB54_6 Depth=2
	ds_read_b32 v27, v17
	s_waitcnt lgkmcnt(0)
	s_nop 0
	v_mov_b32_dpp v28, v27 row_shr:1 row_mask:0xf bank_mask:0xf
	v_cndmask_b32_e64 v28, v28, 0, s[26:27]
	v_add_u32_e32 v27, v28, v27
	s_nop 1
	v_mov_b32_dpp v28, v27 row_shr:2 row_mask:0xf bank_mask:0xf
	v_cndmask_b32_e64 v28, 0, v28, s[28:29]
	v_add_u32_e32 v27, v27, v28
	;; [unrolled: 4-line block ×3, first 2 shown]
	ds_write_b32 v17, v27
.LBB54_12:                              ;   in Loop: Header=BB54_6 Depth=2
	s_or_b64 exec, exec, s[34:35]
	v_mov_b32_e32 v27, 0
	s_waitcnt lgkmcnt(0)
	s_barrier
	s_and_saveexec_b64 s[34:35], s[18:19]
; %bb.13:                               ;   in Loop: Header=BB54_6 Depth=2
	ds_read_b32 v27, v18
; %bb.14:                               ;   in Loop: Header=BB54_6 Depth=2
	s_or_b64 exec, exec, s[34:35]
	s_waitcnt lgkmcnt(0)
	v_add_u32_e32 v10, v27, v10
	ds_bpermute_b32 v10, v14, v10
	v_cmp_lt_u32_e32 vcc, 55, v1
	s_and_b64 vcc, exec, vcc
	s_mov_b64 s[34:35], -1
	s_waitcnt lgkmcnt(0)
	v_cndmask_b32_e64 v10, v10, v27, s[20:21]
	v_cndmask_b32_e64 v10, v10, 0, s[22:23]
	v_add_u32_e32 v11, v10, v11
	v_add_u32_e32 v12, v11, v12
	;; [unrolled: 1-line block ×3, first 2 shown]
	ds_write2_b32 v13, v10, v11 offset0:5 offset1:6
	ds_write2_b32 v13, v12, v9 offset0:7 offset1:8
	s_waitcnt lgkmcnt(0)
	s_barrier
	ds_read_b32 v9, v26 offset:20
	s_waitcnt lgkmcnt(0)
	v_add_u32_e32 v6, v9, v6
                                        ; implicit-def: $vgpr9_vgpr10
	s_cbranch_vccnz .LBB54_5
; %bb.15:                               ;   in Loop: Header=BB54_6 Depth=2
	v_lshlrev_b32_e32 v9, 3, v6
	s_barrier
	ds_write_b64 v9, v[7:8]
	s_waitcnt lgkmcnt(0)
	s_barrier
	ds_read_b64 v[9:10], v19
	v_add_co_u32_e32 v1, vcc, 8, v1
	v_addc_co_u32_e32 v2, vcc, 0, v2, vcc
	s_mov_b64 s[34:35], 0
	s_waitcnt lgkmcnt(0)
	s_barrier
	s_branch .LBB54_5
.LBB54_16:                              ;   in Loop: Header=BB54_2 Depth=1
	v_lshlrev_b32_e32 v1, 3, v6
	s_barrier
	ds_write_b64 v1, v[7:8]
	s_waitcnt lgkmcnt(0)
	s_barrier
	ds_read_b64 v[9:10], v20
	s_waitcnt lgkmcnt(0)
	s_barrier
	s_and_saveexec_b64 s[34:35], s[0:1]
; %bb.17:                               ;   in Loop: Header=BB54_2 Depth=1
	ds_write2st64_b32 v25, v23, v23 offset0:20 offset1:25
; %bb.18:                               ;   in Loop: Header=BB54_2 Depth=1
	s_or_b64 exec, exec, s[34:35]
	s_waitcnt lgkmcnt(0)
	s_barrier
	ds_write_b64 v20, v[9:10]
	s_waitcnt lgkmcnt(0)
	s_barrier
	s_and_saveexec_b64 s[34:35], s[24:25]
	s_cbranch_execz .LBB54_21
; %bb.19:                               ;   in Loop: Header=BB54_2 Depth=1
	ds_read_b32 v1, v21
	s_waitcnt lgkmcnt(0)
	v_cmp_ne_u32_e32 vcc, v1, v9
	s_and_b64 exec, exec, vcc
	s_cbranch_execz .LBB54_21
; %bb.20:                               ;   in Loop: Header=BB54_2 Depth=1
	v_lshlrev_b32_e32 v1, 2, v9
	ds_write_b32 v1, v0 offset:5120
	ds_read_b32 v1, v21
	s_waitcnt lgkmcnt(0)
	v_lshlrev_b32_e32 v1, 2, v1
	ds_write_b32 v1, v0 offset:6400
.LBB54_21:                              ;   in Loop: Header=BB54_2 Depth=1
	s_or_b64 exec, exec, s[34:35]
	s_waitcnt lgkmcnt(0)
	s_barrier
	s_and_saveexec_b64 s[34:35], s[22:23]
; %bb.22:                               ;   in Loop: Header=BB54_2 Depth=1
	v_lshlrev_b32_e32 v1, 2, v9
	ds_write_b32 v1, v5 offset:5120
; %bb.23:                               ;   in Loop: Header=BB54_2 Depth=1
	s_or_b64 exec, exec, s[34:35]
	s_waitcnt lgkmcnt(0)
	s_barrier
	s_and_saveexec_b64 s[34:35], s[0:1]
	s_cbranch_execz .LBB54_1
; %bb.24:                               ;   in Loop: Header=BB54_2 Depth=1
	ds_read2st64_b32 v[1:2], v25 offset0:20 offset1:25
	ds_read_b64 v[6:7], v15
	s_waitcnt lgkmcnt(1)
	v_sub_u32_e32 v1, v2, v1
	s_waitcnt lgkmcnt(0)
	v_add_co_u32_e32 v1, vcc, v6, v1
	v_addc_co_u32_e32 v2, vcc, 0, v7, vcc
	ds_write_b64 v15, v[1:2]
	s_branch .LBB54_1
.LBB54_25:
	s_and_saveexec_b64 s[2:3], s[0:1]
	s_cbranch_execz .LBB54_27
; %bb.26:
	ds_read_b64 v[0:1], v15
	v_mov_b32_e32 v5, s39
	v_add_co_u32_e32 v2, vcc, s38, v3
	v_addc_co_u32_e32 v3, vcc, v5, v4, vcc
	s_waitcnt lgkmcnt(0)
	global_store_dwordx2 v[2:3], v[0:1], off
.LBB54_27:
	s_endpgm
	.section	.rodata,"a",@progbits
	.p2align	6, 0x0
	.amdhsa_kernel _Z6kernelI9histogramILN6hipcub23BlockHistogramAlgorithmE1EEyLj320ELj1ELj320ELj100EEvPKT0_PS4_
		.amdhsa_group_segment_fixed_size 10240
		.amdhsa_private_segment_fixed_size 0
		.amdhsa_kernarg_size 272
		.amdhsa_user_sgpr_count 6
		.amdhsa_user_sgpr_private_segment_buffer 1
		.amdhsa_user_sgpr_dispatch_ptr 0
		.amdhsa_user_sgpr_queue_ptr 0
		.amdhsa_user_sgpr_kernarg_segment_ptr 1
		.amdhsa_user_sgpr_dispatch_id 0
		.amdhsa_user_sgpr_flat_scratch_init 0
		.amdhsa_user_sgpr_private_segment_size 0
		.amdhsa_uses_dynamic_stack 0
		.amdhsa_system_sgpr_private_segment_wavefront_offset 0
		.amdhsa_system_sgpr_workgroup_id_x 1
		.amdhsa_system_sgpr_workgroup_id_y 0
		.amdhsa_system_sgpr_workgroup_id_z 0
		.amdhsa_system_sgpr_workgroup_info 0
		.amdhsa_system_vgpr_workitem_id 2
		.amdhsa_next_free_vgpr 29
		.amdhsa_next_free_sgpr 61
		.amdhsa_reserve_vcc 1
		.amdhsa_reserve_flat_scratch 0
		.amdhsa_float_round_mode_32 0
		.amdhsa_float_round_mode_16_64 0
		.amdhsa_float_denorm_mode_32 3
		.amdhsa_float_denorm_mode_16_64 3
		.amdhsa_dx10_clamp 1
		.amdhsa_ieee_mode 1
		.amdhsa_fp16_overflow 0
		.amdhsa_exception_fp_ieee_invalid_op 0
		.amdhsa_exception_fp_denorm_src 0
		.amdhsa_exception_fp_ieee_div_zero 0
		.amdhsa_exception_fp_ieee_overflow 0
		.amdhsa_exception_fp_ieee_underflow 0
		.amdhsa_exception_fp_ieee_inexact 0
		.amdhsa_exception_int_div_zero 0
	.end_amdhsa_kernel
	.section	.text._Z6kernelI9histogramILN6hipcub23BlockHistogramAlgorithmE1EEyLj320ELj1ELj320ELj100EEvPKT0_PS4_,"axG",@progbits,_Z6kernelI9histogramILN6hipcub23BlockHistogramAlgorithmE1EEyLj320ELj1ELj320ELj100EEvPKT0_PS4_,comdat
.Lfunc_end54:
	.size	_Z6kernelI9histogramILN6hipcub23BlockHistogramAlgorithmE1EEyLj320ELj1ELj320ELj100EEvPKT0_PS4_, .Lfunc_end54-_Z6kernelI9histogramILN6hipcub23BlockHistogramAlgorithmE1EEyLj320ELj1ELj320ELj100EEvPKT0_PS4_
                                        ; -- End function
	.set _Z6kernelI9histogramILN6hipcub23BlockHistogramAlgorithmE1EEyLj320ELj1ELj320ELj100EEvPKT0_PS4_.num_vgpr, 29
	.set _Z6kernelI9histogramILN6hipcub23BlockHistogramAlgorithmE1EEyLj320ELj1ELj320ELj100EEvPKT0_PS4_.num_agpr, 0
	.set _Z6kernelI9histogramILN6hipcub23BlockHistogramAlgorithmE1EEyLj320ELj1ELj320ELj100EEvPKT0_PS4_.numbered_sgpr, 40
	.set _Z6kernelI9histogramILN6hipcub23BlockHistogramAlgorithmE1EEyLj320ELj1ELj320ELj100EEvPKT0_PS4_.num_named_barrier, 0
	.set _Z6kernelI9histogramILN6hipcub23BlockHistogramAlgorithmE1EEyLj320ELj1ELj320ELj100EEvPKT0_PS4_.private_seg_size, 0
	.set _Z6kernelI9histogramILN6hipcub23BlockHistogramAlgorithmE1EEyLj320ELj1ELj320ELj100EEvPKT0_PS4_.uses_vcc, 1
	.set _Z6kernelI9histogramILN6hipcub23BlockHistogramAlgorithmE1EEyLj320ELj1ELj320ELj100EEvPKT0_PS4_.uses_flat_scratch, 0
	.set _Z6kernelI9histogramILN6hipcub23BlockHistogramAlgorithmE1EEyLj320ELj1ELj320ELj100EEvPKT0_PS4_.has_dyn_sized_stack, 0
	.set _Z6kernelI9histogramILN6hipcub23BlockHistogramAlgorithmE1EEyLj320ELj1ELj320ELj100EEvPKT0_PS4_.has_recursion, 0
	.set _Z6kernelI9histogramILN6hipcub23BlockHistogramAlgorithmE1EEyLj320ELj1ELj320ELj100EEvPKT0_PS4_.has_indirect_call, 0
	.section	.AMDGPU.csdata,"",@progbits
; Kernel info:
; codeLenInByte = 1624
; TotalNumSgprs: 44
; NumVgprs: 29
; ScratchSize: 0
; MemoryBound: 0
; FloatMode: 240
; IeeeMode: 1
; LDSByteSize: 10240 bytes/workgroup (compile time only)
; SGPRBlocks: 8
; VGPRBlocks: 7
; NumSGPRsForWavesPerEU: 65
; NumVGPRsForWavesPerEU: 29
; Occupancy: 8
; WaveLimiterHint : 0
; COMPUTE_PGM_RSRC2:SCRATCH_EN: 0
; COMPUTE_PGM_RSRC2:USER_SGPR: 6
; COMPUTE_PGM_RSRC2:TRAP_HANDLER: 0
; COMPUTE_PGM_RSRC2:TGID_X_EN: 1
; COMPUTE_PGM_RSRC2:TGID_Y_EN: 0
; COMPUTE_PGM_RSRC2:TGID_Z_EN: 0
; COMPUTE_PGM_RSRC2:TIDIG_COMP_CNT: 2
	.section	.text._Z6kernelI9histogramILN6hipcub23BlockHistogramAlgorithmE1EEyLj320ELj2ELj320ELj100EEvPKT0_PS4_,"axG",@progbits,_Z6kernelI9histogramILN6hipcub23BlockHistogramAlgorithmE1EEyLj320ELj2ELj320ELj100EEvPKT0_PS4_,comdat
	.protected	_Z6kernelI9histogramILN6hipcub23BlockHistogramAlgorithmE1EEyLj320ELj2ELj320ELj100EEvPKT0_PS4_ ; -- Begin function _Z6kernelI9histogramILN6hipcub23BlockHistogramAlgorithmE1EEyLj320ELj2ELj320ELj100EEvPKT0_PS4_
	.globl	_Z6kernelI9histogramILN6hipcub23BlockHistogramAlgorithmE1EEyLj320ELj2ELj320ELj100EEvPKT0_PS4_
	.p2align	8
	.type	_Z6kernelI9histogramILN6hipcub23BlockHistogramAlgorithmE1EEyLj320ELj2ELj320ELj100EEvPKT0_PS4_,@function
_Z6kernelI9histogramILN6hipcub23BlockHistogramAlgorithmE1EEyLj320ELj2ELj320ELj100EEvPKT0_PS4_: ; @_Z6kernelI9histogramILN6hipcub23BlockHistogramAlgorithmE1EEyLj320ELj2ELj320ELj100EEvPKT0_PS4_
; %bb.0:
	s_mulk_i32 s6, 0x140
	s_load_dwordx4 s[36:39], s[4:5], 0x0
	s_load_dword s7, s[4:5], 0x1c
	v_add_u32_e32 v7, s6, v0
	v_mov_b32_e32 v8, 0
	v_lshlrev_b32_e32 v3, 1, v7
	v_mov_b32_e32 v4, v8
	v_lshlrev_b64 v[3:4], 3, v[3:4]
	s_waitcnt lgkmcnt(0)
	v_mov_b32_e32 v5, s37
	v_add_co_u32_e32 v3, vcc, s36, v3
	v_addc_co_u32_e32 v4, vcc, v5, v4, vcc
	global_load_dwordx4 v[3:6], v[3:4], off
	s_lshr_b32 s4, s7, 16
	v_mbcnt_lo_u32_b32 v9, -1, 0
	s_and_b32 s5, s7, 0xffff
	v_mad_u32_u24 v1, v2, s4, v1
	v_mbcnt_hi_u32_b32 v9, -1, v9
	v_mad_u64_u32 v[1:2], s[4:5], v1, s5, v[0:1]
	v_and_b32_e32 v2, 15, v9
	v_cmp_eq_u32_e64 s[4:5], 0, v2
	v_cmp_lt_u32_e64 s[6:7], 1, v2
	v_cmp_lt_u32_e64 s[8:9], 3, v2
	;; [unrolled: 1-line block ×3, first 2 shown]
	v_and_b32_e32 v2, 16, v9
	v_cmp_eq_u32_e64 s[12:13], 0, v2
	v_and_b32_e32 v2, 0x1c0, v0
	v_min_u32_e32 v2, 0x100, v2
	v_and_b32_e32 v11, 1, v9
	v_or_b32_e32 v2, 63, v2
	v_cmp_eq_u32_e64 s[2:3], 0, v11
	v_and_b32_e32 v11, 64, v9
	v_cmp_eq_u32_e64 s[16:17], v0, v2
	v_subrev_co_u32_e64 v2, s[22:23], 1, v9
	v_cmp_lt_i32_e32 vcc, v2, v11
	v_cndmask_b32_e32 v2, v2, v9, vcc
	v_lshlrev_b32_e32 v16, 2, v2
	v_lshrrev_b32_e32 v2, 4, v0
	v_lshrrev_b32_e32 v10, 1, v9
	v_and_b32_e32 v17, 28, v2
	v_and_b32_e32 v2, 7, v9
	v_lshlrev_b32_e32 v19, 1, v0
	s_movk_i32 s36, 0x380
	v_or_b32_e32 v10, v10, v11
	v_cmp_eq_u32_e64 s[28:29], 0, v2
	v_cmp_lt_u32_e64 s[30:31], 1, v2
	v_cmp_lt_u32_e64 s[34:35], 3, v2
	v_and_or_b32 v2, v19, s36, v9
	v_lshlrev_b32_e32 v13, 2, v10
	v_cmp_lt_u32_e64 s[14:15], 31, v9
	v_lshrrev_b32_e32 v9, 2, v2
	v_lshlrev_b32_e32 v10, 3, v2
	v_add_u32_e32 v2, 64, v2
	v_lshrrev_b32_e32 v2, 2, v2
	v_and_b32_e32 v2, 0x1f8, v2
	v_add_u32_e32 v22, v2, v10
	v_lshrrev_b32_e32 v2, 1, v0
	v_lshlrev_b32_e32 v15, 4, v0
	v_and_b32_e32 v9, 0xf8, v9
	v_and_b32_e32 v2, 0xf8, v2
	s_movk_i32 s0, 0x140
	v_mad_i32_i24 v18, v0, -12, v15
	v_add_u32_e32 v21, v9, v10
	v_add_u32_e32 v23, v15, v2
	v_lshlrev_b32_e32 v2, 2, v0
	v_mov_b32_e32 v9, 0x1e00
	v_cmp_gt_u32_e64 s[0:1], s0, v0
	v_cmp_gt_u32_e64 s[18:19], 5, v0
	v_cmp_lt_u32_e64 s[20:21], 63, v0
	v_cmp_eq_u32_e64 s[24:25], 0, v0
	v_cmp_ne_u32_e64 s[26:27], 0, v0
	v_add_u32_e32 v24, v18, v2
	v_lshl_add_u32 v20, v0, 3, v9
	v_sub_u32_e32 v0, 0, v2
	v_lshrrev_b32_e32 v1, 4, v1
	s_mov_b32 s33, 0
	v_xor_b32_e32 v14, 0x80, v13
	v_or_b32_e32 v25, 1, v19
	v_add_u32_e32 v26, -8, v24
	v_and_b32_e32 v27, 0xffffffc, v1
	v_add_u32_e32 v28, v24, v0
	s_branch .LBB55_2
.LBB55_1:                               ;   in Loop: Header=BB55_2 Depth=1
	s_or_b64 exec, exec, s[36:37]
	s_add_i32 s33, s33, 1
	s_cmpk_lg_i32 s33, 0x64
	s_cbranch_scc0 .LBB55_29
.LBB55_2:                               ; =>This Loop Header: Depth=1
                                        ;     Child Loop BB55_6 Depth 2
	s_and_saveexec_b64 s[36:37], s[0:1]
; %bb.3:                                ;   in Loop: Header=BB55_2 Depth=1
	v_mov_b32_e32 v9, v8
	ds_write_b64 v20, v[8:9]
; %bb.4:                                ;   in Loop: Header=BB55_2 Depth=1
	s_or_b64 exec, exec, s[36:37]
	s_waitcnt vmcnt(0)
	ds_bpermute_b32 v0, v13, v3
	ds_bpermute_b32 v1, v13, v4
	;; [unrolled: 1-line block ×8, first 2 shown]
	s_waitcnt lgkmcnt(4)
	v_cndmask_b32_e64 v10, v9, v1, s[2:3]
	v_cndmask_b32_e64 v9, v2, v0, s[2:3]
	s_waitcnt lgkmcnt(2)
	v_cndmask_b32_e64 v11, v5, v3, s[2:3]
	v_mov_b32_e32 v2, 0
	s_waitcnt lgkmcnt(0)
	v_cndmask_b32_e64 v12, v6, v4, s[2:3]
	v_mov_b32_e32 v3, 0
	s_barrier
	s_barrier
	s_branch .LBB55_6
.LBB55_5:                               ;   in Loop: Header=BB55_6 Depth=2
	s_andn2_b64 vcc, exec, s[36:37]
	s_cbranch_vccz .LBB55_18
.LBB55_6:                               ;   Parent Loop BB55_2 Depth=1
                                        ; =>  This Inner Loop Header: Depth=2
	v_mov_b32_e32 v4, v9
	v_mov_b32_e32 v0, v11
	;; [unrolled: 1-line block ×4, first 2 shown]
	v_lshrrev_b64 v[10:11], v2, v[4:5]
	v_mov_b32_e32 v6, 20
	v_mul_u32_u24_sdwa v11, v10, v6 dst_sel:DWORD dst_unused:UNUSED_PAD src0_sel:BYTE_0 src1_sel:DWORD
	v_and_b32_e32 v6, 1, v10
	v_add_co_u32_e32 v9, vcc, -1, v6
	v_addc_co_u32_e64 v12, s[36:37], 0, -1, vcc
	v_cmp_ne_u32_e32 vcc, 0, v6
	v_xor_b32_e32 v9, vcc_lo, v9
	v_xor_b32_e32 v6, vcc_hi, v12
	v_and_b32_e32 v12, exec_lo, v9
	v_lshlrev_b32_e32 v9, 30, v10
	v_cmp_gt_i64_e32 vcc, 0, v[8:9]
	v_not_b32_e32 v9, v9
	v_ashrrev_i32_e32 v9, 31, v9
	v_xor_b32_e32 v29, vcc_hi, v9
	v_xor_b32_e32 v9, vcc_lo, v9
	v_and_b32_e32 v12, v12, v9
	v_lshlrev_b32_e32 v9, 29, v10
	v_cmp_gt_i64_e32 vcc, 0, v[8:9]
	v_not_b32_e32 v9, v9
	v_and_b32_e32 v6, exec_hi, v6
	v_ashrrev_i32_e32 v9, 31, v9
	v_and_b32_e32 v6, v6, v29
	v_xor_b32_e32 v29, vcc_hi, v9
	v_xor_b32_e32 v9, vcc_lo, v9
	v_and_b32_e32 v12, v12, v9
	v_lshlrev_b32_e32 v9, 28, v10
	v_cmp_gt_i64_e32 vcc, 0, v[8:9]
	v_not_b32_e32 v9, v9
	v_ashrrev_i32_e32 v9, 31, v9
	v_and_b32_e32 v6, v6, v29
	v_xor_b32_e32 v29, vcc_hi, v9
	v_xor_b32_e32 v9, vcc_lo, v9
	v_and_b32_e32 v12, v12, v9
	v_lshlrev_b32_e32 v9, 27, v10
	v_cmp_gt_i64_e32 vcc, 0, v[8:9]
	v_not_b32_e32 v9, v9
	;; [unrolled: 8-line block ×5, first 2 shown]
	v_ashrrev_i32_e32 v9, 31, v9
	v_xor_b32_e32 v10, vcc_hi, v9
	v_xor_b32_e32 v9, vcc_lo, v9
	v_and_b32_e32 v6, v6, v29
	v_and_b32_e32 v9, v12, v9
	;; [unrolled: 1-line block ×3, first 2 shown]
	v_mbcnt_lo_u32_b32 v6, v9, 0
	v_mbcnt_hi_u32_b32 v6, v10, v6
	v_cmp_ne_u64_e32 vcc, 0, v[9:10]
	v_cmp_eq_u32_e64 s[36:37], 0, v6
	s_and_b64 s[40:41], vcc, s[36:37]
	v_add_u32_e32 v29, v27, v11
	ds_write2_b32 v15, v8, v8 offset0:5 offset1:6
	ds_write2_b32 v15, v8, v8 offset0:7 offset1:8
	s_waitcnt lgkmcnt(0)
	s_barrier
	; wave barrier
	s_and_saveexec_b64 s[36:37], s[40:41]
; %bb.7:                                ;   in Loop: Header=BB55_6 Depth=2
	v_bcnt_u32_b32 v9, v9, 0
	v_bcnt_u32_b32 v9, v10, v9
	ds_write_b32 v29, v9 offset:20
; %bb.8:                                ;   in Loop: Header=BB55_6 Depth=2
	s_or_b64 exec, exec, s[36:37]
	v_lshrrev_b64 v[10:11], v2, v[0:1]
	v_and_b32_e32 v9, 0xff, v10
	v_mul_u32_u24_e32 v11, 20, v9
	v_mad_u32_u24 v9, v9, 20, v27
	; wave barrier
	ds_read_b32 v30, v9 offset:20
	v_and_b32_e32 v9, 1, v10
	v_add_co_u32_e32 v12, vcc, -1, v9
	v_addc_co_u32_e64 v31, s[36:37], 0, -1, vcc
	v_cmp_ne_u32_e32 vcc, 0, v9
	v_xor_b32_e32 v9, vcc_hi, v31
	v_and_b32_e32 v31, exec_hi, v9
	v_lshlrev_b32_e32 v9, 30, v10
	v_xor_b32_e32 v12, vcc_lo, v12
	v_cmp_gt_i64_e32 vcc, 0, v[8:9]
	v_not_b32_e32 v9, v9
	v_ashrrev_i32_e32 v9, 31, v9
	v_and_b32_e32 v12, exec_lo, v12
	v_xor_b32_e32 v32, vcc_hi, v9
	v_xor_b32_e32 v9, vcc_lo, v9
	v_and_b32_e32 v12, v12, v9
	v_lshlrev_b32_e32 v9, 29, v10
	v_cmp_gt_i64_e32 vcc, 0, v[8:9]
	v_not_b32_e32 v9, v9
	v_ashrrev_i32_e32 v9, 31, v9
	v_and_b32_e32 v31, v31, v32
	v_xor_b32_e32 v32, vcc_hi, v9
	v_xor_b32_e32 v9, vcc_lo, v9
	v_and_b32_e32 v12, v12, v9
	v_lshlrev_b32_e32 v9, 28, v10
	v_cmp_gt_i64_e32 vcc, 0, v[8:9]
	v_not_b32_e32 v9, v9
	v_ashrrev_i32_e32 v9, 31, v9
	v_and_b32_e32 v31, v31, v32
	;; [unrolled: 8-line block ×5, first 2 shown]
	v_xor_b32_e32 v32, vcc_hi, v9
	v_xor_b32_e32 v9, vcc_lo, v9
	v_and_b32_e32 v12, v12, v9
	v_lshlrev_b32_e32 v9, 24, v10
	v_cmp_gt_i64_e32 vcc, 0, v[8:9]
	v_not_b32_e32 v9, v9
	v_ashrrev_i32_e32 v9, 31, v9
	v_xor_b32_e32 v10, vcc_hi, v9
	v_xor_b32_e32 v9, vcc_lo, v9
	v_and_b32_e32 v31, v31, v32
	v_and_b32_e32 v9, v12, v9
	;; [unrolled: 1-line block ×3, first 2 shown]
	v_mbcnt_lo_u32_b32 v12, v9, 0
	v_mbcnt_hi_u32_b32 v31, v10, v12
	v_cmp_ne_u64_e32 vcc, 0, v[9:10]
	v_cmp_eq_u32_e64 s[36:37], 0, v31
	s_and_b64 s[40:41], vcc, s[36:37]
	v_add_u32_e32 v32, v27, v11
	; wave barrier
	s_and_saveexec_b64 s[36:37], s[40:41]
	s_cbranch_execz .LBB55_10
; %bb.9:                                ;   in Loop: Header=BB55_6 Depth=2
	v_bcnt_u32_b32 v9, v9, 0
	v_bcnt_u32_b32 v9, v10, v9
	s_waitcnt lgkmcnt(0)
	v_add_u32_e32 v9, v30, v9
	ds_write_b32 v32, v9 offset:20
.LBB55_10:                              ;   in Loop: Header=BB55_6 Depth=2
	s_or_b64 exec, exec, s[36:37]
	; wave barrier
	s_waitcnt lgkmcnt(0)
	s_barrier
	ds_read2_b32 v[11:12], v15 offset0:5 offset1:6
	ds_read2_b32 v[9:10], v15 offset0:7 offset1:8
	s_waitcnt lgkmcnt(1)
	v_add_u32_e32 v33, v12, v11
	s_waitcnt lgkmcnt(0)
	v_add3_u32 v10, v33, v9, v10
	s_nop 1
	v_mov_b32_dpp v33, v10 row_shr:1 row_mask:0xf bank_mask:0xf
	v_cndmask_b32_e64 v33, v33, 0, s[4:5]
	v_add_u32_e32 v10, v33, v10
	s_nop 1
	v_mov_b32_dpp v33, v10 row_shr:2 row_mask:0xf bank_mask:0xf
	v_cndmask_b32_e64 v33, 0, v33, s[6:7]
	v_add_u32_e32 v10, v10, v33
	;; [unrolled: 4-line block ×4, first 2 shown]
	s_nop 1
	v_mov_b32_dpp v33, v10 row_bcast:15 row_mask:0xf bank_mask:0xf
	v_cndmask_b32_e64 v33, v33, 0, s[12:13]
	v_add_u32_e32 v10, v10, v33
	s_nop 1
	v_mov_b32_dpp v33, v10 row_bcast:31 row_mask:0xf bank_mask:0xf
	v_cndmask_b32_e64 v33, 0, v33, s[14:15]
	v_add_u32_e32 v10, v10, v33
	s_and_saveexec_b64 s[36:37], s[16:17]
; %bb.11:                               ;   in Loop: Header=BB55_6 Depth=2
	ds_write_b32 v17, v10
; %bb.12:                               ;   in Loop: Header=BB55_6 Depth=2
	s_or_b64 exec, exec, s[36:37]
	s_waitcnt lgkmcnt(0)
	s_barrier
	s_and_saveexec_b64 s[36:37], s[18:19]
	s_cbranch_execz .LBB55_14
; %bb.13:                               ;   in Loop: Header=BB55_6 Depth=2
	ds_read_b32 v33, v18
	s_waitcnt lgkmcnt(0)
	s_nop 0
	v_mov_b32_dpp v34, v33 row_shr:1 row_mask:0xf bank_mask:0xf
	v_cndmask_b32_e64 v34, v34, 0, s[28:29]
	v_add_u32_e32 v33, v34, v33
	s_nop 1
	v_mov_b32_dpp v34, v33 row_shr:2 row_mask:0xf bank_mask:0xf
	v_cndmask_b32_e64 v34, 0, v34, s[30:31]
	v_add_u32_e32 v33, v33, v34
	s_nop 1
	v_mov_b32_dpp v34, v33 row_shr:4 row_mask:0xf bank_mask:0xf
	v_cndmask_b32_e64 v34, 0, v34, s[34:35]
	v_add_u32_e32 v33, v33, v34
	ds_write_b32 v18, v33
.LBB55_14:                              ;   in Loop: Header=BB55_6 Depth=2
	s_or_b64 exec, exec, s[36:37]
	v_mov_b32_e32 v33, 0
	s_waitcnt lgkmcnt(0)
	s_barrier
	s_and_saveexec_b64 s[36:37], s[20:21]
; %bb.15:                               ;   in Loop: Header=BB55_6 Depth=2
	v_add_u32_e32 v33, -4, v17
	ds_read_b32 v33, v33
; %bb.16:                               ;   in Loop: Header=BB55_6 Depth=2
	s_or_b64 exec, exec, s[36:37]
	s_waitcnt lgkmcnt(0)
	v_add_u32_e32 v10, v33, v10
	ds_bpermute_b32 v10, v16, v10
	v_cmp_lt_u32_e32 vcc, 55, v2
	s_and_b64 vcc, exec, vcc
	s_mov_b64 s[36:37], -1
	s_waitcnt lgkmcnt(0)
	v_cndmask_b32_e64 v10, v10, v33, s[22:23]
	v_cndmask_b32_e64 v10, v10, 0, s[24:25]
	v_add_u32_e32 v11, v10, v11
	v_add_u32_e32 v12, v11, v12
	;; [unrolled: 1-line block ×3, first 2 shown]
	ds_write2_b32 v15, v10, v11 offset0:5 offset1:6
	ds_write2_b32 v15, v12, v9 offset0:7 offset1:8
	s_waitcnt lgkmcnt(0)
	s_barrier
	ds_read_b32 v9, v29 offset:20
	ds_read_b32 v10, v32 offset:20
                                        ; implicit-def: $vgpr11_vgpr12
	s_waitcnt lgkmcnt(1)
	v_add_u32_e32 v29, v9, v6
	s_waitcnt lgkmcnt(0)
	v_add3_u32 v6, v31, v30, v10
                                        ; implicit-def: $vgpr9_vgpr10
	s_cbranch_vccnz .LBB55_5
; %bb.17:                               ;   in Loop: Header=BB55_6 Depth=2
	v_lshrrev_b32_e32 v9, 2, v29
	v_and_b32_e32 v9, 0x3ffffff8, v9
	v_lshl_add_u32 v9, v29, 3, v9
	s_barrier
	ds_write_b64 v9, v[4:5]
	v_lshrrev_b32_e32 v9, 2, v6
	v_and_b32_e32 v9, 0x3ffffff8, v9
	v_lshl_add_u32 v9, v6, 3, v9
	ds_write_b64 v9, v[0:1]
	s_waitcnt lgkmcnt(0)
	s_barrier
	ds_read_b64 v[9:10], v21
	ds_read_b64 v[11:12], v22 offset:512
	v_add_co_u32_e32 v2, vcc, 8, v2
	v_addc_co_u32_e32 v3, vcc, 0, v3, vcc
	s_mov_b64 s[36:37], 0
	s_waitcnt lgkmcnt(0)
	s_barrier
	s_branch .LBB55_5
.LBB55_18:                              ;   in Loop: Header=BB55_2 Depth=1
	v_lshrrev_b32_e32 v2, 2, v29
	v_and_b32_e32 v2, 0x3ffffff8, v2
	v_lshl_add_u32 v2, v29, 3, v2
	s_barrier
	ds_write_b64 v2, v[4:5]
	v_lshrrev_b32_e32 v2, 2, v6
	v_and_b32_e32 v2, 0x3ffffff8, v2
	v_lshl_add_u32 v2, v6, 3, v2
	ds_write_b64 v2, v[0:1]
	s_waitcnt lgkmcnt(0)
	s_barrier
	ds_read2_b64 v[3:6], v23 offset1:1
	s_waitcnt lgkmcnt(0)
	s_barrier
	s_and_saveexec_b64 s[36:37], s[0:1]
; %bb.19:                               ;   in Loop: Header=BB55_2 Depth=1
	v_mov_b32_e32 v0, 0x280
	ds_write2st64_b32 v28, v0, v0 offset0:20 offset1:25
; %bb.20:                               ;   in Loop: Header=BB55_2 Depth=1
	s_or_b64 exec, exec, s[36:37]
	v_cmp_ne_u32_e32 vcc, v3, v5
	v_lshlrev_b32_e32 v0, 2, v3
	s_waitcnt lgkmcnt(0)
	s_barrier
	ds_write_b64 v24, v[5:6]
	s_and_saveexec_b64 s[36:37], vcc
	s_cbranch_execz .LBB55_22
; %bb.21:                               ;   in Loop: Header=BB55_2 Depth=1
	v_lshlrev_b32_e32 v1, 2, v5
	ds_write_b32 v1, v25 offset:5120
	ds_write_b32 v0, v25 offset:6400
.LBB55_22:                              ;   in Loop: Header=BB55_2 Depth=1
	s_or_b64 exec, exec, s[36:37]
	s_waitcnt lgkmcnt(0)
	s_barrier
	s_and_saveexec_b64 s[36:37], s[26:27]
	s_cbranch_execz .LBB55_25
; %bb.23:                               ;   in Loop: Header=BB55_2 Depth=1
	ds_read_b32 v1, v26
	s_waitcnt lgkmcnt(0)
	v_cmp_ne_u32_e32 vcc, v1, v3
	s_and_b64 exec, exec, vcc
	s_cbranch_execz .LBB55_25
; %bb.24:                               ;   in Loop: Header=BB55_2 Depth=1
	ds_write_b32 v0, v19 offset:5120
	ds_read_b32 v1, v26
	s_waitcnt lgkmcnt(0)
	v_lshlrev_b32_e32 v1, 2, v1
	ds_write_b32 v1, v19 offset:6400
.LBB55_25:                              ;   in Loop: Header=BB55_2 Depth=1
	s_or_b64 exec, exec, s[36:37]
	s_waitcnt lgkmcnt(0)
	s_barrier
	s_and_saveexec_b64 s[36:37], s[24:25]
; %bb.26:                               ;   in Loop: Header=BB55_2 Depth=1
	ds_write_b32 v0, v8 offset:5120
; %bb.27:                               ;   in Loop: Header=BB55_2 Depth=1
	s_or_b64 exec, exec, s[36:37]
	s_waitcnt lgkmcnt(0)
	s_barrier
	s_and_saveexec_b64 s[36:37], s[0:1]
	s_cbranch_execz .LBB55_1
; %bb.28:                               ;   in Loop: Header=BB55_2 Depth=1
	ds_read2st64_b32 v[0:1], v28 offset0:20 offset1:25
	ds_read_b64 v[9:10], v20
	s_waitcnt lgkmcnt(1)
	v_sub_u32_e32 v0, v1, v0
	s_waitcnt lgkmcnt(0)
	v_add_co_u32_e32 v0, vcc, v9, v0
	v_addc_co_u32_e32 v1, vcc, 0, v10, vcc
	ds_write_b64 v20, v[0:1]
	s_branch .LBB55_1
.LBB55_29:
	s_and_saveexec_b64 s[2:3], s[0:1]
	s_cbranch_execz .LBB55_31
; %bb.30:
	v_mov_b32_e32 v8, 0
	ds_read_b64 v[2:3], v20
	v_lshlrev_b64 v[0:1], 3, v[7:8]
	v_mov_b32_e32 v4, s39
	v_add_co_u32_e32 v0, vcc, s38, v0
	v_addc_co_u32_e32 v1, vcc, v4, v1, vcc
	s_waitcnt lgkmcnt(0)
	global_store_dwordx2 v[0:1], v[2:3], off
.LBB55_31:
	s_endpgm
	.section	.rodata,"a",@progbits
	.p2align	6, 0x0
	.amdhsa_kernel _Z6kernelI9histogramILN6hipcub23BlockHistogramAlgorithmE1EEyLj320ELj2ELj320ELj100EEvPKT0_PS4_
		.amdhsa_group_segment_fixed_size 10240
		.amdhsa_private_segment_fixed_size 0
		.amdhsa_kernarg_size 272
		.amdhsa_user_sgpr_count 6
		.amdhsa_user_sgpr_private_segment_buffer 1
		.amdhsa_user_sgpr_dispatch_ptr 0
		.amdhsa_user_sgpr_queue_ptr 0
		.amdhsa_user_sgpr_kernarg_segment_ptr 1
		.amdhsa_user_sgpr_dispatch_id 0
		.amdhsa_user_sgpr_flat_scratch_init 0
		.amdhsa_user_sgpr_private_segment_size 0
		.amdhsa_uses_dynamic_stack 0
		.amdhsa_system_sgpr_private_segment_wavefront_offset 0
		.amdhsa_system_sgpr_workgroup_id_x 1
		.amdhsa_system_sgpr_workgroup_id_y 0
		.amdhsa_system_sgpr_workgroup_id_z 0
		.amdhsa_system_sgpr_workgroup_info 0
		.amdhsa_system_vgpr_workitem_id 2
		.amdhsa_next_free_vgpr 35
		.amdhsa_next_free_sgpr 61
		.amdhsa_reserve_vcc 1
		.amdhsa_reserve_flat_scratch 0
		.amdhsa_float_round_mode_32 0
		.amdhsa_float_round_mode_16_64 0
		.amdhsa_float_denorm_mode_32 3
		.amdhsa_float_denorm_mode_16_64 3
		.amdhsa_dx10_clamp 1
		.amdhsa_ieee_mode 1
		.amdhsa_fp16_overflow 0
		.amdhsa_exception_fp_ieee_invalid_op 0
		.amdhsa_exception_fp_denorm_src 0
		.amdhsa_exception_fp_ieee_div_zero 0
		.amdhsa_exception_fp_ieee_overflow 0
		.amdhsa_exception_fp_ieee_underflow 0
		.amdhsa_exception_fp_ieee_inexact 0
		.amdhsa_exception_int_div_zero 0
	.end_amdhsa_kernel
	.section	.text._Z6kernelI9histogramILN6hipcub23BlockHistogramAlgorithmE1EEyLj320ELj2ELj320ELj100EEvPKT0_PS4_,"axG",@progbits,_Z6kernelI9histogramILN6hipcub23BlockHistogramAlgorithmE1EEyLj320ELj2ELj320ELj100EEvPKT0_PS4_,comdat
.Lfunc_end55:
	.size	_Z6kernelI9histogramILN6hipcub23BlockHistogramAlgorithmE1EEyLj320ELj2ELj320ELj100EEvPKT0_PS4_, .Lfunc_end55-_Z6kernelI9histogramILN6hipcub23BlockHistogramAlgorithmE1EEyLj320ELj2ELj320ELj100EEvPKT0_PS4_
                                        ; -- End function
	.set _Z6kernelI9histogramILN6hipcub23BlockHistogramAlgorithmE1EEyLj320ELj2ELj320ELj100EEvPKT0_PS4_.num_vgpr, 35
	.set _Z6kernelI9histogramILN6hipcub23BlockHistogramAlgorithmE1EEyLj320ELj2ELj320ELj100EEvPKT0_PS4_.num_agpr, 0
	.set _Z6kernelI9histogramILN6hipcub23BlockHistogramAlgorithmE1EEyLj320ELj2ELj320ELj100EEvPKT0_PS4_.numbered_sgpr, 42
	.set _Z6kernelI9histogramILN6hipcub23BlockHistogramAlgorithmE1EEyLj320ELj2ELj320ELj100EEvPKT0_PS4_.num_named_barrier, 0
	.set _Z6kernelI9histogramILN6hipcub23BlockHistogramAlgorithmE1EEyLj320ELj2ELj320ELj100EEvPKT0_PS4_.private_seg_size, 0
	.set _Z6kernelI9histogramILN6hipcub23BlockHistogramAlgorithmE1EEyLj320ELj2ELj320ELj100EEvPKT0_PS4_.uses_vcc, 1
	.set _Z6kernelI9histogramILN6hipcub23BlockHistogramAlgorithmE1EEyLj320ELj2ELj320ELj100EEvPKT0_PS4_.uses_flat_scratch, 0
	.set _Z6kernelI9histogramILN6hipcub23BlockHistogramAlgorithmE1EEyLj320ELj2ELj320ELj100EEvPKT0_PS4_.has_dyn_sized_stack, 0
	.set _Z6kernelI9histogramILN6hipcub23BlockHistogramAlgorithmE1EEyLj320ELj2ELj320ELj100EEvPKT0_PS4_.has_recursion, 0
	.set _Z6kernelI9histogramILN6hipcub23BlockHistogramAlgorithmE1EEyLj320ELj2ELj320ELj100EEvPKT0_PS4_.has_indirect_call, 0
	.section	.AMDGPU.csdata,"",@progbits
; Kernel info:
; codeLenInByte = 2380
; TotalNumSgprs: 46
; NumVgprs: 35
; ScratchSize: 0
; MemoryBound: 0
; FloatMode: 240
; IeeeMode: 1
; LDSByteSize: 10240 bytes/workgroup (compile time only)
; SGPRBlocks: 8
; VGPRBlocks: 8
; NumSGPRsForWavesPerEU: 65
; NumVGPRsForWavesPerEU: 35
; Occupancy: 7
; WaveLimiterHint : 0
; COMPUTE_PGM_RSRC2:SCRATCH_EN: 0
; COMPUTE_PGM_RSRC2:USER_SGPR: 6
; COMPUTE_PGM_RSRC2:TRAP_HANDLER: 0
; COMPUTE_PGM_RSRC2:TGID_X_EN: 1
; COMPUTE_PGM_RSRC2:TGID_Y_EN: 0
; COMPUTE_PGM_RSRC2:TGID_Z_EN: 0
; COMPUTE_PGM_RSRC2:TIDIG_COMP_CNT: 2
	.section	.text._Z6kernelI9histogramILN6hipcub23BlockHistogramAlgorithmE1EEyLj320ELj3ELj320ELj100EEvPKT0_PS4_,"axG",@progbits,_Z6kernelI9histogramILN6hipcub23BlockHistogramAlgorithmE1EEyLj320ELj3ELj320ELj100EEvPKT0_PS4_,comdat
	.protected	_Z6kernelI9histogramILN6hipcub23BlockHistogramAlgorithmE1EEyLj320ELj3ELj320ELj100EEvPKT0_PS4_ ; -- Begin function _Z6kernelI9histogramILN6hipcub23BlockHistogramAlgorithmE1EEyLj320ELj3ELj320ELj100EEvPKT0_PS4_
	.globl	_Z6kernelI9histogramILN6hipcub23BlockHistogramAlgorithmE1EEyLj320ELj3ELj320ELj100EEvPKT0_PS4_
	.p2align	8
	.type	_Z6kernelI9histogramILN6hipcub23BlockHistogramAlgorithmE1EEyLj320ELj3ELj320ELj100EEvPKT0_PS4_,@function
_Z6kernelI9histogramILN6hipcub23BlockHistogramAlgorithmE1EEyLj320ELj3ELj320ELj100EEvPKT0_PS4_: ; @_Z6kernelI9histogramILN6hipcub23BlockHistogramAlgorithmE1EEyLj320ELj3ELj320ELj100EEvPKT0_PS4_
; %bb.0:
	s_mulk_i32 s6, 0x140
	s_load_dwordx4 s[36:39], s[4:5], 0x0
	s_load_dword s2, s[4:5], 0x1c
	v_add_u32_e32 v7, s6, v0
	v_mov_b32_e32 v8, 0
	v_lshl_add_u32 v3, v7, 1, v7
	v_mov_b32_e32 v4, v8
	v_lshlrev_b64 v[4:5], 3, v[3:4]
	s_waitcnt lgkmcnt(0)
	v_mov_b32_e32 v6, s37
	v_add_co_u32_e32 v12, vcc, s36, v4
	v_addc_co_u32_e32 v13, vcc, v6, v5, vcc
	v_add_u32_e32 v4, 1, v3
	v_mov_b32_e32 v5, v8
	v_lshlrev_b64 v[4:5], 3, v[4:5]
	v_add_u32_e32 v3, 2, v3
	v_add_co_u32_e32 v14, vcc, s36, v4
	v_mov_b32_e32 v4, v8
	v_lshlrev_b64 v[3:4], 3, v[3:4]
	v_addc_co_u32_e32 v15, vcc, v6, v5, vcc
	v_mov_b32_e32 v5, s37
	v_add_co_u32_e32 v16, vcc, s36, v3
	v_addc_co_u32_e32 v17, vcc, v5, v4, vcc
	global_load_dwordx2 v[3:4], v[12:13], off
	global_load_dwordx2 v[5:6], v[14:15], off
	;; [unrolled: 1-line block ×3, first 2 shown]
	s_lshr_b32 s3, s2, 16
	v_mbcnt_lo_u32_b32 v9, -1, 0
	s_and_b32 s2, s2, 0xffff
	v_mad_u32_u24 v1, v2, s3, v1
	v_mbcnt_hi_u32_b32 v9, -1, v9
	v_mad_u64_u32 v[1:2], s[2:3], v1, s2, v[0:1]
	v_lshrrev_b32_e32 v12, 6, v0
	v_and_b32_e32 v2, 15, v9
	v_mul_u32_u24_e32 v13, 0xc0, v12
	v_cmp_eq_u32_e64 s[2:3], 0, v2
	v_cmp_lt_u32_e64 s[4:5], 1, v2
	v_cmp_lt_u32_e64 s[6:7], 3, v2
	;; [unrolled: 1-line block ×3, first 2 shown]
	v_and_b32_e32 v2, 16, v9
	v_lshlrev_b32_e32 v13, 3, v13
	v_lshlrev_b32_e32 v14, 3, v9
	v_cmp_eq_u32_e64 s[10:11], 0, v2
	v_and_b32_e32 v2, 0x1c0, v0
	v_mad_u32_u24 v18, v9, 24, v13
	v_add_u32_e32 v19, v14, v13
	v_min_u32_e32 v13, 0x100, v2
	v_or_b32_e32 v13, 63, v13
	v_cmp_eq_u32_e64 s[14:15], v0, v13
	v_subrev_co_u32_e64 v13, s[20:21], 1, v9
	v_and_b32_e32 v15, 64, v9
	v_cmp_lt_i32_e32 vcc, v13, v15
	v_cmp_lt_u32_e64 s[12:13], 31, v9
	v_cndmask_b32_e32 v13, v13, v9, vcc
	v_and_b32_e32 v9, 7, v9
	v_lshlrev_b32_e32 v20, 4, v0
	v_cmp_eq_u32_e64 s[26:27], 0, v9
	v_cmp_lt_u32_e64 s[28:29], 1, v9
	v_cmp_lt_u32_e64 s[30:31], 3, v9
	v_mov_b32_e32 v9, 0x1e00
	s_movk_i32 s0, 0x140
	v_lshlrev_b32_e32 v22, 2, v12
	v_mul_i32_i24_e32 v12, -12, v0
	v_mad_i32_i24 v23, v0, -12, v20
	v_lshl_add_u32 v27, v0, 3, v9
	v_lshlrev_b32_e32 v9, 2, v0
	v_cmp_gt_u32_e64 s[0:1], s0, v0
	v_cmp_gt_u32_e64 s[16:17], 5, v0
	v_cmp_lt_u32_e64 s[18:19], 63, v0
	v_cmp_eq_u32_e64 s[22:23], 0, v0
	v_cmp_ne_u32_e64 s[24:25], 0, v0
	v_mul_u32_u24_e32 v24, 3, v0
	v_mad_u32_u24 v25, v0, 20, v23
	v_mad_u32_u24 v26, v0, 20, v12
	v_mad_u32_u24 v28, v0, 3, 2
	v_mad_u32_u24 v29, v0, 3, 1
	v_mul_u32_u24_e32 v0, 24, v2
	v_sub_u32_e32 v2, 0, v9
	v_lshrrev_b32_e32 v1, 4, v1
	s_mov_b32 s33, 0
	v_lshlrev_b32_e32 v21, 2, v13
	v_add_u32_e32 v30, -4, v22
	v_add_u32_e32 v31, -8, v26
	v_and_b32_e32 v32, 0xffffffc, v1
	v_add_u32_e32 v33, v14, v0
	v_mov_b32_e32 v34, 0x3c0
	v_add_u32_e32 v35, v26, v2
	v_mov_b32_e32 v36, 20
	s_branch .LBB56_2
.LBB56_1:                               ;   in Loop: Header=BB56_2 Depth=1
	s_or_b64 exec, exec, s[34:35]
	s_waitcnt lgkmcnt(0)
	s_barrier
	ds_read2st64_b32 v[0:1], v35 offset0:20 offset1:25
	ds_read_b64 v[12:13], v27
	s_add_i32 s33, s33, 1
	s_cmpk_lg_i32 s33, 0x64
	s_waitcnt lgkmcnt(1)
	v_sub_u32_e32 v0, v1, v0
	s_waitcnt lgkmcnt(0)
	v_add_co_u32_e32 v0, vcc, v12, v0
	v_addc_co_u32_e32 v1, vcc, 0, v13, vcc
	ds_write_b64 v27, v[0:1]
	s_cbranch_scc0 .LBB56_29
.LBB56_2:                               ; =>This Loop Header: Depth=1
                                        ;     Child Loop BB56_6 Depth 2
	s_and_saveexec_b64 s[34:35], s[0:1]
; %bb.3:                                ;   in Loop: Header=BB56_2 Depth=1
	v_mov_b32_e32 v9, v8
	ds_write_b64 v27, v[8:9]
; %bb.4:                                ;   in Loop: Header=BB56_2 Depth=1
	s_or_b64 exec, exec, s[34:35]
	s_waitcnt vmcnt(0) lgkmcnt(0)
	s_barrier
	ds_write2_b64 v18, v[3:4], v[5:6] offset1:1
	ds_write_b64 v18, v[10:11] offset:16
	; wave barrier
	ds_read2st64_b64 v[0:3], v19 offset1:1
	ds_read_b64 v[16:17], v19 offset:1024
	v_mov_b32_e32 v10, 0
	v_mov_b32_e32 v11, 0
	s_waitcnt lgkmcnt(0)
	s_barrier
	; wave barrier
	s_barrier
	s_branch .LBB56_6
.LBB56_5:                               ;   in Loop: Header=BB56_6 Depth=2
	s_andn2_b64 vcc, exec, s[34:35]
	s_cbranch_vccz .LBB56_20
.LBB56_6:                               ;   Parent Loop BB56_2 Depth=1
                                        ; =>  This Inner Loop Header: Depth=2
	v_mov_b32_e32 v15, v1
	v_mov_b32_e32 v14, v0
	v_lshrrev_b64 v[0:1], v10, v[14:15]
	v_mov_b32_e32 v13, v3
	v_and_b32_e32 v1, 1, v0
	v_mov_b32_e32 v12, v2
	v_add_co_u32_e32 v3, vcc, -1, v1
	v_addc_co_u32_e64 v6, s[34:35], 0, -1, vcc
	v_cmp_ne_u32_e32 vcc, 0, v1
	v_lshlrev_b32_e32 v9, 30, v0
	v_xor_b32_e32 v1, vcc_hi, v6
	v_xor_b32_e32 v3, vcc_lo, v3
	v_cmp_gt_i64_e32 vcc, 0, v[8:9]
	v_not_b32_e32 v6, v9
	v_ashrrev_i32_e32 v6, 31, v6
	v_and_b32_e32 v1, exec_hi, v1
	v_xor_b32_e32 v9, vcc_hi, v6
	v_and_b32_e32 v3, exec_lo, v3
	v_xor_b32_e32 v6, vcc_lo, v6
	v_and_b32_e32 v1, v1, v9
	v_lshlrev_b32_e32 v9, 29, v0
	v_and_b32_e32 v3, v3, v6
	v_cmp_gt_i64_e32 vcc, 0, v[8:9]
	v_not_b32_e32 v6, v9
	v_ashrrev_i32_e32 v6, 31, v6
	v_xor_b32_e32 v9, vcc_hi, v6
	v_xor_b32_e32 v6, vcc_lo, v6
	v_and_b32_e32 v1, v1, v9
	v_lshlrev_b32_e32 v9, 28, v0
	v_and_b32_e32 v3, v3, v6
	v_cmp_gt_i64_e32 vcc, 0, v[8:9]
	v_not_b32_e32 v6, v9
	v_ashrrev_i32_e32 v6, 31, v6
	v_xor_b32_e32 v9, vcc_hi, v6
	;; [unrolled: 8-line block ×5, first 2 shown]
	v_and_b32_e32 v1, v1, v9
	v_lshlrev_b32_e32 v9, 24, v0
	v_mul_u32_u24_sdwa v2, v0, v36 dst_sel:DWORD dst_unused:UNUSED_PAD src0_sel:BYTE_0 src1_sel:DWORD
	v_xor_b32_e32 v6, vcc_lo, v6
	v_cmp_gt_i64_e32 vcc, 0, v[8:9]
	v_not_b32_e32 v0, v9
	v_ashrrev_i32_e32 v0, 31, v0
	v_and_b32_e32 v3, v3, v6
	v_xor_b32_e32 v6, vcc_hi, v0
	v_xor_b32_e32 v0, vcc_lo, v0
	v_and_b32_e32 v0, v3, v0
	v_and_b32_e32 v1, v1, v6
	v_mbcnt_lo_u32_b32 v3, v0, 0
	v_mbcnt_hi_u32_b32 v6, v1, v3
	v_cmp_ne_u64_e32 vcc, 0, v[0:1]
	v_mov_b32_e32 v4, v16
	v_cmp_eq_u32_e64 s[34:35], 0, v6
	v_mov_b32_e32 v5, v17
	s_and_b64 s[36:37], vcc, s[34:35]
	v_add_u32_e32 v16, v32, v2
	ds_write2_b32 v20, v8, v8 offset0:5 offset1:6
	ds_write2_b32 v20, v8, v8 offset0:7 offset1:8
	s_waitcnt lgkmcnt(0)
	s_barrier
	; wave barrier
	s_and_saveexec_b64 s[34:35], s[36:37]
; %bb.7:                                ;   in Loop: Header=BB56_6 Depth=2
	v_bcnt_u32_b32 v0, v0, 0
	v_bcnt_u32_b32 v0, v1, v0
	ds_write_b32 v16, v0 offset:20
; %bb.8:                                ;   in Loop: Header=BB56_6 Depth=2
	s_or_b64 exec, exec, s[34:35]
	v_lshrrev_b64 v[0:1], v10, v[12:13]
	v_and_b32_e32 v1, 0xff, v0
	v_mul_u32_u24_e32 v2, 20, v1
	v_mad_u32_u24 v1, v1, 20, v32
	; wave barrier
	ds_read_b32 v17, v1 offset:20
	v_and_b32_e32 v1, 1, v0
	v_add_co_u32_e32 v3, vcc, -1, v1
	v_addc_co_u32_e64 v9, s[34:35], 0, -1, vcc
	v_cmp_ne_u32_e32 vcc, 0, v1
	v_xor_b32_e32 v1, vcc_hi, v9
	v_lshlrev_b32_e32 v9, 30, v0
	v_xor_b32_e32 v3, vcc_lo, v3
	v_cmp_gt_i64_e32 vcc, 0, v[8:9]
	v_not_b32_e32 v9, v9
	v_ashrrev_i32_e32 v9, 31, v9
	v_and_b32_e32 v3, exec_lo, v3
	v_xor_b32_e32 v37, vcc_hi, v9
	v_xor_b32_e32 v9, vcc_lo, v9
	v_and_b32_e32 v3, v3, v9
	v_lshlrev_b32_e32 v9, 29, v0
	v_cmp_gt_i64_e32 vcc, 0, v[8:9]
	v_not_b32_e32 v9, v9
	v_and_b32_e32 v1, exec_hi, v1
	v_ashrrev_i32_e32 v9, 31, v9
	v_and_b32_e32 v1, v1, v37
	v_xor_b32_e32 v37, vcc_hi, v9
	v_xor_b32_e32 v9, vcc_lo, v9
	v_and_b32_e32 v3, v3, v9
	v_lshlrev_b32_e32 v9, 28, v0
	v_cmp_gt_i64_e32 vcc, 0, v[8:9]
	v_not_b32_e32 v9, v9
	v_ashrrev_i32_e32 v9, 31, v9
	v_and_b32_e32 v1, v1, v37
	v_xor_b32_e32 v37, vcc_hi, v9
	v_xor_b32_e32 v9, vcc_lo, v9
	v_and_b32_e32 v3, v3, v9
	v_lshlrev_b32_e32 v9, 27, v0
	v_cmp_gt_i64_e32 vcc, 0, v[8:9]
	v_not_b32_e32 v9, v9
	;; [unrolled: 8-line block ×5, first 2 shown]
	v_ashrrev_i32_e32 v0, 31, v0
	v_xor_b32_e32 v9, vcc_hi, v0
	v_xor_b32_e32 v0, vcc_lo, v0
	v_and_b32_e32 v1, v1, v37
	v_and_b32_e32 v0, v3, v0
	;; [unrolled: 1-line block ×3, first 2 shown]
	v_mbcnt_lo_u32_b32 v3, v0, 0
	v_mbcnt_hi_u32_b32 v37, v1, v3
	v_cmp_ne_u64_e32 vcc, 0, v[0:1]
	v_cmp_eq_u32_e64 s[34:35], 0, v37
	s_and_b64 s[36:37], vcc, s[34:35]
	v_add_u32_e32 v38, v32, v2
	; wave barrier
	s_and_saveexec_b64 s[34:35], s[36:37]
	s_cbranch_execz .LBB56_10
; %bb.9:                                ;   in Loop: Header=BB56_6 Depth=2
	v_bcnt_u32_b32 v0, v0, 0
	v_bcnt_u32_b32 v0, v1, v0
	s_waitcnt lgkmcnt(0)
	v_add_u32_e32 v0, v17, v0
	ds_write_b32 v38, v0 offset:20
.LBB56_10:                              ;   in Loop: Header=BB56_6 Depth=2
	s_or_b64 exec, exec, s[34:35]
	v_lshrrev_b64 v[0:1], v10, v[4:5]
	v_and_b32_e32 v1, 0xff, v0
	v_mul_u32_u24_e32 v2, 20, v1
	v_mad_u32_u24 v1, v1, 20, v32
	; wave barrier
	ds_read_b32 v39, v1 offset:20
	v_and_b32_e32 v1, 1, v0
	v_add_co_u32_e32 v3, vcc, -1, v1
	v_addc_co_u32_e64 v9, s[34:35], 0, -1, vcc
	v_cmp_ne_u32_e32 vcc, 0, v1
	v_xor_b32_e32 v1, vcc_hi, v9
	v_lshlrev_b32_e32 v9, 30, v0
	v_xor_b32_e32 v3, vcc_lo, v3
	v_cmp_gt_i64_e32 vcc, 0, v[8:9]
	v_not_b32_e32 v9, v9
	v_ashrrev_i32_e32 v9, 31, v9
	v_and_b32_e32 v3, exec_lo, v3
	v_xor_b32_e32 v40, vcc_hi, v9
	v_xor_b32_e32 v9, vcc_lo, v9
	v_and_b32_e32 v3, v3, v9
	v_lshlrev_b32_e32 v9, 29, v0
	v_cmp_gt_i64_e32 vcc, 0, v[8:9]
	v_not_b32_e32 v9, v9
	v_and_b32_e32 v1, exec_hi, v1
	v_ashrrev_i32_e32 v9, 31, v9
	v_and_b32_e32 v1, v1, v40
	v_xor_b32_e32 v40, vcc_hi, v9
	v_xor_b32_e32 v9, vcc_lo, v9
	v_and_b32_e32 v3, v3, v9
	v_lshlrev_b32_e32 v9, 28, v0
	v_cmp_gt_i64_e32 vcc, 0, v[8:9]
	v_not_b32_e32 v9, v9
	v_ashrrev_i32_e32 v9, 31, v9
	v_and_b32_e32 v1, v1, v40
	v_xor_b32_e32 v40, vcc_hi, v9
	v_xor_b32_e32 v9, vcc_lo, v9
	v_and_b32_e32 v3, v3, v9
	v_lshlrev_b32_e32 v9, 27, v0
	v_cmp_gt_i64_e32 vcc, 0, v[8:9]
	v_not_b32_e32 v9, v9
	;; [unrolled: 8-line block ×5, first 2 shown]
	v_ashrrev_i32_e32 v0, 31, v0
	v_xor_b32_e32 v9, vcc_hi, v0
	v_xor_b32_e32 v0, vcc_lo, v0
	v_and_b32_e32 v1, v1, v40
	v_and_b32_e32 v0, v3, v0
	;; [unrolled: 1-line block ×3, first 2 shown]
	v_mbcnt_lo_u32_b32 v3, v0, 0
	v_mbcnt_hi_u32_b32 v9, v1, v3
	v_cmp_ne_u64_e32 vcc, 0, v[0:1]
	v_cmp_eq_u32_e64 s[34:35], 0, v9
	s_and_b64 s[36:37], vcc, s[34:35]
	v_add_u32_e32 v40, v32, v2
	; wave barrier
	s_and_saveexec_b64 s[34:35], s[36:37]
	s_cbranch_execz .LBB56_12
; %bb.11:                               ;   in Loop: Header=BB56_6 Depth=2
	v_bcnt_u32_b32 v0, v0, 0
	v_bcnt_u32_b32 v0, v1, v0
	s_waitcnt lgkmcnt(0)
	v_add_u32_e32 v0, v39, v0
	ds_write_b32 v40, v0 offset:20
.LBB56_12:                              ;   in Loop: Header=BB56_6 Depth=2
	s_or_b64 exec, exec, s[34:35]
	; wave barrier
	s_waitcnt lgkmcnt(0)
	s_barrier
	ds_read2_b32 v[2:3], v20 offset0:5 offset1:6
	ds_read2_b32 v[0:1], v20 offset0:7 offset1:8
	s_waitcnt lgkmcnt(1)
	v_add_u32_e32 v41, v3, v2
	s_waitcnt lgkmcnt(0)
	v_add3_u32 v1, v41, v0, v1
	s_nop 1
	v_mov_b32_dpp v41, v1 row_shr:1 row_mask:0xf bank_mask:0xf
	v_cndmask_b32_e64 v41, v41, 0, s[2:3]
	v_add_u32_e32 v1, v41, v1
	s_nop 1
	v_mov_b32_dpp v41, v1 row_shr:2 row_mask:0xf bank_mask:0xf
	v_cndmask_b32_e64 v41, 0, v41, s[4:5]
	v_add_u32_e32 v1, v1, v41
	s_nop 1
	v_mov_b32_dpp v41, v1 row_shr:4 row_mask:0xf bank_mask:0xf
	v_cndmask_b32_e64 v41, 0, v41, s[6:7]
	v_add_u32_e32 v1, v1, v41
	s_nop 1
	v_mov_b32_dpp v41, v1 row_shr:8 row_mask:0xf bank_mask:0xf
	v_cndmask_b32_e64 v41, 0, v41, s[8:9]
	v_add_u32_e32 v1, v1, v41
	s_nop 1
	v_mov_b32_dpp v41, v1 row_bcast:15 row_mask:0xf bank_mask:0xf
	v_cndmask_b32_e64 v41, v41, 0, s[10:11]
	v_add_u32_e32 v1, v1, v41
	s_nop 1
	v_mov_b32_dpp v41, v1 row_bcast:31 row_mask:0xf bank_mask:0xf
	v_cndmask_b32_e64 v41, 0, v41, s[12:13]
	v_add_u32_e32 v1, v1, v41
	s_and_saveexec_b64 s[34:35], s[14:15]
; %bb.13:                               ;   in Loop: Header=BB56_6 Depth=2
	ds_write_b32 v22, v1
; %bb.14:                               ;   in Loop: Header=BB56_6 Depth=2
	s_or_b64 exec, exec, s[34:35]
	s_waitcnt lgkmcnt(0)
	s_barrier
	s_and_saveexec_b64 s[34:35], s[16:17]
	s_cbranch_execz .LBB56_16
; %bb.15:                               ;   in Loop: Header=BB56_6 Depth=2
	ds_read_b32 v41, v23
	s_waitcnt lgkmcnt(0)
	s_nop 0
	v_mov_b32_dpp v42, v41 row_shr:1 row_mask:0xf bank_mask:0xf
	v_cndmask_b32_e64 v42, v42, 0, s[26:27]
	v_add_u32_e32 v41, v42, v41
	s_nop 1
	v_mov_b32_dpp v42, v41 row_shr:2 row_mask:0xf bank_mask:0xf
	v_cndmask_b32_e64 v42, 0, v42, s[28:29]
	v_add_u32_e32 v41, v41, v42
	;; [unrolled: 4-line block ×3, first 2 shown]
	ds_write_b32 v23, v41
.LBB56_16:                              ;   in Loop: Header=BB56_6 Depth=2
	s_or_b64 exec, exec, s[34:35]
	v_mov_b32_e32 v41, 0
	s_waitcnt lgkmcnt(0)
	s_barrier
	s_and_saveexec_b64 s[34:35], s[18:19]
; %bb.17:                               ;   in Loop: Header=BB56_6 Depth=2
	ds_read_b32 v41, v30
; %bb.18:                               ;   in Loop: Header=BB56_6 Depth=2
	s_or_b64 exec, exec, s[34:35]
	s_waitcnt lgkmcnt(0)
	v_add_u32_e32 v1, v41, v1
	ds_bpermute_b32 v1, v21, v1
	v_cmp_lt_u32_e32 vcc, 55, v10
	s_and_b64 vcc, exec, vcc
	s_mov_b64 s[34:35], -1
	s_waitcnt lgkmcnt(0)
	v_cndmask_b32_e64 v1, v1, v41, s[20:21]
	v_cndmask_b32_e64 v1, v1, 0, s[22:23]
	v_add_u32_e32 v2, v1, v2
	v_add_u32_e32 v3, v2, v3
	;; [unrolled: 1-line block ×3, first 2 shown]
	ds_write2_b32 v20, v1, v2 offset0:5 offset1:6
	ds_write2_b32 v20, v3, v0 offset0:7 offset1:8
	s_waitcnt lgkmcnt(0)
	s_barrier
	ds_read_b32 v0, v16 offset:20
	ds_read_b32 v1, v38 offset:20
	;; [unrolled: 1-line block ×3, first 2 shown]
	s_waitcnt lgkmcnt(2)
	v_add_u32_e32 v38, v0, v6
	s_waitcnt lgkmcnt(1)
	v_add3_u32 v37, v37, v17, v1
	s_waitcnt lgkmcnt(0)
	v_add3_u32 v6, v9, v39, v2
                                        ; implicit-def: $vgpr16_vgpr17
                                        ; implicit-def: $vgpr2_vgpr3
	s_cbranch_vccnz .LBB56_5
; %bb.19:                               ;   in Loop: Header=BB56_6 Depth=2
	v_lshlrev_b32_e32 v0, 3, v38
	s_barrier
	ds_write_b64 v0, v[14:15]
	v_lshlrev_b32_e32 v0, 3, v37
	ds_write_b64 v0, v[12:13]
	v_lshlrev_b32_e32 v0, 3, v6
	ds_write_b64 v0, v[4:5]
	s_waitcnt lgkmcnt(0)
	s_barrier
	ds_read2st64_b64 v[0:3], v33 offset1:1
	ds_read_b64 v[16:17], v33 offset:1024
	v_add_co_u32_e32 v10, vcc, 8, v10
	v_addc_co_u32_e32 v11, vcc, 0, v11, vcc
	s_mov_b64 s[34:35], 0
	s_waitcnt lgkmcnt(0)
	s_barrier
	s_branch .LBB56_5
.LBB56_20:                              ;   in Loop: Header=BB56_2 Depth=1
	v_lshlrev_b32_e32 v0, 3, v38
	s_barrier
	ds_write_b64 v0, v[14:15]
	v_lshlrev_b32_e32 v0, 3, v37
	ds_write_b64 v0, v[12:13]
	v_lshlrev_b32_e32 v0, 3, v6
	ds_write_b64 v0, v[4:5]
	s_waitcnt lgkmcnt(0)
	s_barrier
	ds_read2_b64 v[3:6], v25 offset1:1
	ds_read_b64 v[10:11], v25 offset:16
	s_waitcnt lgkmcnt(0)
	s_barrier
	v_lshlrev_b32_e32 v1, 2, v5
	v_cmp_ne_u32_e32 vcc, v5, v10
	ds_write2st64_b32 v35, v34, v34 offset0:20 offset1:25
	s_waitcnt lgkmcnt(0)
	s_barrier
	ds_write_b64 v26, v[10:11]
	s_and_saveexec_b64 s[34:35], vcc
	s_cbranch_execz .LBB56_22
; %bb.21:                               ;   in Loop: Header=BB56_2 Depth=1
	v_lshlrev_b32_e32 v0, 2, v10
	ds_write_b32 v0, v28 offset:5120
	ds_write_b32 v1, v28 offset:6400
.LBB56_22:                              ;   in Loop: Header=BB56_2 Depth=1
	s_or_b64 exec, exec, s[34:35]
	v_cmp_ne_u32_e32 vcc, v5, v3
	v_lshlrev_b32_e32 v0, 2, v3
	s_and_saveexec_b64 s[34:35], vcc
	s_cbranch_execz .LBB56_24
; %bb.23:                               ;   in Loop: Header=BB56_2 Depth=1
	ds_write_b32 v1, v29 offset:5120
	ds_write_b32 v0, v29 offset:6400
.LBB56_24:                              ;   in Loop: Header=BB56_2 Depth=1
	s_or_b64 exec, exec, s[34:35]
	s_waitcnt lgkmcnt(0)
	s_barrier
	s_and_saveexec_b64 s[34:35], s[24:25]
	s_cbranch_execz .LBB56_27
; %bb.25:                               ;   in Loop: Header=BB56_2 Depth=1
	ds_read_b32 v1, v31
	s_waitcnt lgkmcnt(0)
	v_cmp_ne_u32_e32 vcc, v1, v3
	s_and_b64 exec, exec, vcc
	s_cbranch_execz .LBB56_27
; %bb.26:                               ;   in Loop: Header=BB56_2 Depth=1
	ds_write_b32 v0, v24 offset:5120
	ds_read_b32 v1, v31
	s_waitcnt lgkmcnt(0)
	v_lshlrev_b32_e32 v1, 2, v1
	ds_write_b32 v1, v24 offset:6400
.LBB56_27:                              ;   in Loop: Header=BB56_2 Depth=1
	s_or_b64 exec, exec, s[34:35]
	s_waitcnt lgkmcnt(0)
	s_barrier
	s_and_saveexec_b64 s[34:35], s[22:23]
	s_cbranch_execz .LBB56_1
; %bb.28:                               ;   in Loop: Header=BB56_2 Depth=1
	ds_write_b32 v0, v8 offset:5120
	s_branch .LBB56_1
.LBB56_29:
	v_mov_b32_e32 v8, 0
	v_lshlrev_b64 v[2:3], 3, v[7:8]
	v_mov_b32_e32 v4, s39
	v_add_co_u32_e32 v2, vcc, s38, v2
	v_addc_co_u32_e32 v3, vcc, v4, v3, vcc
	global_store_dwordx2 v[2:3], v[0:1], off
	s_endpgm
	.section	.rodata,"a",@progbits
	.p2align	6, 0x0
	.amdhsa_kernel _Z6kernelI9histogramILN6hipcub23BlockHistogramAlgorithmE1EEyLj320ELj3ELj320ELj100EEvPKT0_PS4_
		.amdhsa_group_segment_fixed_size 10240
		.amdhsa_private_segment_fixed_size 0
		.amdhsa_kernarg_size 272
		.amdhsa_user_sgpr_count 6
		.amdhsa_user_sgpr_private_segment_buffer 1
		.amdhsa_user_sgpr_dispatch_ptr 0
		.amdhsa_user_sgpr_queue_ptr 0
		.amdhsa_user_sgpr_kernarg_segment_ptr 1
		.amdhsa_user_sgpr_dispatch_id 0
		.amdhsa_user_sgpr_flat_scratch_init 0
		.amdhsa_user_sgpr_private_segment_size 0
		.amdhsa_uses_dynamic_stack 0
		.amdhsa_system_sgpr_private_segment_wavefront_offset 0
		.amdhsa_system_sgpr_workgroup_id_x 1
		.amdhsa_system_sgpr_workgroup_id_y 0
		.amdhsa_system_sgpr_workgroup_id_z 0
		.amdhsa_system_sgpr_workgroup_info 0
		.amdhsa_system_vgpr_workitem_id 2
		.amdhsa_next_free_vgpr 43
		.amdhsa_next_free_sgpr 61
		.amdhsa_reserve_vcc 1
		.amdhsa_reserve_flat_scratch 0
		.amdhsa_float_round_mode_32 0
		.amdhsa_float_round_mode_16_64 0
		.amdhsa_float_denorm_mode_32 3
		.amdhsa_float_denorm_mode_16_64 3
		.amdhsa_dx10_clamp 1
		.amdhsa_ieee_mode 1
		.amdhsa_fp16_overflow 0
		.amdhsa_exception_fp_ieee_invalid_op 0
		.amdhsa_exception_fp_denorm_src 0
		.amdhsa_exception_fp_ieee_div_zero 0
		.amdhsa_exception_fp_ieee_overflow 0
		.amdhsa_exception_fp_ieee_underflow 0
		.amdhsa_exception_fp_ieee_inexact 0
		.amdhsa_exception_int_div_zero 0
	.end_amdhsa_kernel
	.section	.text._Z6kernelI9histogramILN6hipcub23BlockHistogramAlgorithmE1EEyLj320ELj3ELj320ELj100EEvPKT0_PS4_,"axG",@progbits,_Z6kernelI9histogramILN6hipcub23BlockHistogramAlgorithmE1EEyLj320ELj3ELj320ELj100EEvPKT0_PS4_,comdat
.Lfunc_end56:
	.size	_Z6kernelI9histogramILN6hipcub23BlockHistogramAlgorithmE1EEyLj320ELj3ELj320ELj100EEvPKT0_PS4_, .Lfunc_end56-_Z6kernelI9histogramILN6hipcub23BlockHistogramAlgorithmE1EEyLj320ELj3ELj320ELj100EEvPKT0_PS4_
                                        ; -- End function
	.set _Z6kernelI9histogramILN6hipcub23BlockHistogramAlgorithmE1EEyLj320ELj3ELj320ELj100EEvPKT0_PS4_.num_vgpr, 43
	.set _Z6kernelI9histogramILN6hipcub23BlockHistogramAlgorithmE1EEyLj320ELj3ELj320ELj100EEvPKT0_PS4_.num_agpr, 0
	.set _Z6kernelI9histogramILN6hipcub23BlockHistogramAlgorithmE1EEyLj320ELj3ELj320ELj100EEvPKT0_PS4_.numbered_sgpr, 40
	.set _Z6kernelI9histogramILN6hipcub23BlockHistogramAlgorithmE1EEyLj320ELj3ELj320ELj100EEvPKT0_PS4_.num_named_barrier, 0
	.set _Z6kernelI9histogramILN6hipcub23BlockHistogramAlgorithmE1EEyLj320ELj3ELj320ELj100EEvPKT0_PS4_.private_seg_size, 0
	.set _Z6kernelI9histogramILN6hipcub23BlockHistogramAlgorithmE1EEyLj320ELj3ELj320ELj100EEvPKT0_PS4_.uses_vcc, 1
	.set _Z6kernelI9histogramILN6hipcub23BlockHistogramAlgorithmE1EEyLj320ELj3ELj320ELj100EEvPKT0_PS4_.uses_flat_scratch, 0
	.set _Z6kernelI9histogramILN6hipcub23BlockHistogramAlgorithmE1EEyLj320ELj3ELj320ELj100EEvPKT0_PS4_.has_dyn_sized_stack, 0
	.set _Z6kernelI9histogramILN6hipcub23BlockHistogramAlgorithmE1EEyLj320ELj3ELj320ELj100EEvPKT0_PS4_.has_recursion, 0
	.set _Z6kernelI9histogramILN6hipcub23BlockHistogramAlgorithmE1EEyLj320ELj3ELj320ELj100EEvPKT0_PS4_.has_indirect_call, 0
	.section	.AMDGPU.csdata,"",@progbits
; Kernel info:
; codeLenInByte = 2720
; TotalNumSgprs: 44
; NumVgprs: 43
; ScratchSize: 0
; MemoryBound: 0
; FloatMode: 240
; IeeeMode: 1
; LDSByteSize: 10240 bytes/workgroup (compile time only)
; SGPRBlocks: 8
; VGPRBlocks: 10
; NumSGPRsForWavesPerEU: 65
; NumVGPRsForWavesPerEU: 43
; Occupancy: 5
; WaveLimiterHint : 0
; COMPUTE_PGM_RSRC2:SCRATCH_EN: 0
; COMPUTE_PGM_RSRC2:USER_SGPR: 6
; COMPUTE_PGM_RSRC2:TRAP_HANDLER: 0
; COMPUTE_PGM_RSRC2:TGID_X_EN: 1
; COMPUTE_PGM_RSRC2:TGID_Y_EN: 0
; COMPUTE_PGM_RSRC2:TGID_Z_EN: 0
; COMPUTE_PGM_RSRC2:TIDIG_COMP_CNT: 2
	.section	.text._Z6kernelI9histogramILN6hipcub23BlockHistogramAlgorithmE1EEyLj320ELj4ELj320ELj100EEvPKT0_PS4_,"axG",@progbits,_Z6kernelI9histogramILN6hipcub23BlockHistogramAlgorithmE1EEyLj320ELj4ELj320ELj100EEvPKT0_PS4_,comdat
	.protected	_Z6kernelI9histogramILN6hipcub23BlockHistogramAlgorithmE1EEyLj320ELj4ELj320ELj100EEvPKT0_PS4_ ; -- Begin function _Z6kernelI9histogramILN6hipcub23BlockHistogramAlgorithmE1EEyLj320ELj4ELj320ELj100EEvPKT0_PS4_
	.globl	_Z6kernelI9histogramILN6hipcub23BlockHistogramAlgorithmE1EEyLj320ELj4ELj320ELj100EEvPKT0_PS4_
	.p2align	8
	.type	_Z6kernelI9histogramILN6hipcub23BlockHistogramAlgorithmE1EEyLj320ELj4ELj320ELj100EEvPKT0_PS4_,@function
_Z6kernelI9histogramILN6hipcub23BlockHistogramAlgorithmE1EEyLj320ELj4ELj320ELj100EEvPKT0_PS4_: ; @_Z6kernelI9histogramILN6hipcub23BlockHistogramAlgorithmE1EEyLj320ELj4ELj320ELj100EEvPKT0_PS4_
; %bb.0:
	s_mulk_i32 s6, 0x140
	s_load_dwordx4 s[44:47], s[4:5], 0x0
	s_load_dword s10, s[4:5], 0x1c
	v_add_u32_e32 v11, s6, v0
	v_mov_b32_e32 v12, 0
	v_lshlrev_b32_e32 v3, 2, v11
	v_mov_b32_e32 v4, v12
	v_lshlrev_b64 v[3:4], 3, v[3:4]
	s_waitcnt lgkmcnt(0)
	v_mov_b32_e32 v5, s45
	v_add_co_u32_e32 v13, vcc, s44, v3
	v_addc_co_u32_e32 v14, vcc, v5, v4, vcc
	global_load_dwordx4 v[3:6], v[13:14], off offset:16
	global_load_dwordx4 v[7:10], v[13:14], off
	s_lshr_b32 s11, s10, 16
	v_mbcnt_lo_u32_b32 v13, -1, 0
	s_and_b32 s10, s10, 0xffff
	v_mad_u32_u24 v1, v2, s11, v1
	v_mbcnt_hi_u32_b32 v13, -1, v13
	v_mad_u64_u32 v[1:2], s[10:11], v1, s10, v[0:1]
	v_and_b32_e32 v2, 15, v13
	v_cmp_eq_u32_e64 s[10:11], 0, v2
	v_cmp_lt_u32_e64 s[12:13], 1, v2
	v_cmp_lt_u32_e64 s[14:15], 3, v2
	;; [unrolled: 1-line block ×3, first 2 shown]
	v_and_b32_e32 v2, 16, v13
	v_cmp_eq_u32_e64 s[18:19], 0, v2
	v_and_b32_e32 v2, 0x1c0, v0
	v_min_u32_e32 v2, 0x100, v2
	v_and_b32_e32 v15, 3, v13
	v_or_b32_e32 v2, 63, v2
	v_cmp_eq_u32_e64 s[2:3], 3, v15
	v_cmp_eq_u32_e64 s[4:5], 2, v15
	v_cmp_eq_u32_e64 s[6:7], 1, v15
	v_cmp_eq_u32_e64 s[8:9], 0, v15
	v_and_b32_e32 v15, 64, v13
	v_cmp_eq_u32_e64 s[22:23], v0, v2
	v_subrev_co_u32_e64 v2, s[28:29], 1, v13
	v_cmp_lt_i32_e32 vcc, v2, v15
	v_cndmask_b32_e32 v2, v2, v13, vcc
	v_lshlrev_b32_e32 v27, 2, v2
	v_lshrrev_b32_e32 v2, 4, v0
	v_lshrrev_b32_e32 v14, 2, v13
	v_lshlrev_b32_e32 v25, 2, v0
	v_and_b32_e32 v28, 28, v2
	v_and_b32_e32 v2, 7, v13
	s_movk_i32 s42, 0x700
	v_or_b32_e32 v16, v14, v15
	v_add_u32_e32 v14, 48, v14
	v_cmp_eq_u32_e64 s[36:37], 0, v2
	v_cmp_lt_u32_e64 s[38:39], 1, v2
	v_cmp_lt_u32_e64 s[40:41], 3, v2
	v_and_or_b32 v2, v25, s42, v13
	v_and_or_b32 v14, v14, 63, v15
	v_cmp_lt_u32_e64 s[20:21], 31, v13
	v_lshrrev_b32_e32 v13, 2, v2
	v_lshlrev_b32_e32 v24, 2, v14
	v_and_b32_e32 v13, 0x1d8, v13
	v_lshlrev_b32_e32 v14, 3, v2
	v_add_u32_e32 v31, v13, v14
	v_add_u32_e32 v13, 64, v2
	v_lshrrev_b32_e32 v13, 2, v13
	v_and_b32_e32 v13, 0x1f8, v13
	v_add_u32_e32 v33, v13, v14
	v_or_b32_e32 v13, 0x80, v2
	v_add_u32_e32 v2, 0xc0, v2
	v_lshrrev_b32_e32 v2, 2, v2
	v_and_b32_e32 v2, 0x3f8, v2
	v_lshlrev_b32_e32 v26, 4, v0
	v_add_u32_e32 v35, v2, v14
	v_and_b32_e32 v2, 0x1f8, v0
	s_movk_i32 s0, 0x140
	v_mad_i32_i24 v29, v0, -12, v26
	v_lshrrev_b32_e32 v13, 2, v13
	v_lshl_add_u32 v36, v0, 5, v2
	v_mov_b32_e32 v2, 0x2940
	v_cmp_gt_u32_e64 s[0:1], s0, v0
	v_lshlrev_b32_e32 v21, 2, v16
	v_cmp_gt_u32_e64 s[24:25], 5, v0
	v_cmp_lt_u32_e64 s[26:27], 63, v0
	v_cmp_eq_u32_e64 s[30:31], 0, v0
	v_cmp_ne_u32_e64 s[34:35], 0, v0
	v_and_b32_e32 v13, 0x1f8, v13
	v_add_u32_e32 v37, v29, v25
	v_lshl_add_u32 v32, v0, 3, v2
	v_sub_u32_e32 v0, 0, v25
	v_lshrrev_b32_e32 v1, 4, v1
	s_mov_b32 s33, 0
	v_add_u32_e32 v22, 64, v21
	v_or_b32_e32 v23, 0x80, v21
	v_add_u32_e32 v30, -4, v28
	v_add_u32_e32 v34, v13, v14
	v_or_b32_e32 v38, 3, v25
	v_or_b32_e32 v39, 2, v25
	;; [unrolled: 1-line block ×3, first 2 shown]
	v_add_u32_e32 v41, -8, v37
	v_and_b32_e32 v42, 0xffffffc, v1
	v_mov_b32_e32 v43, 0x500
	v_mov_b32_e32 v44, 20
	v_add_u32_e32 v45, v37, v0
	s_branch .LBB57_2
.LBB57_1:                               ;   in Loop: Header=BB57_2 Depth=1
	s_or_b64 exec, exec, s[42:43]
	s_add_i32 s33, s33, 1
	s_cmpk_lg_i32 s33, 0x64
	s_cbranch_scc0 .LBB57_37
.LBB57_2:                               ; =>This Loop Header: Depth=1
                                        ;     Child Loop BB57_6 Depth 2
	s_and_saveexec_b64 s[42:43], s[0:1]
; %bb.3:                                ;   in Loop: Header=BB57_2 Depth=1
	v_mov_b32_e32 v13, v12
	ds_write_b64 v32, v[12:13]
; %bb.4:                                ;   in Loop: Header=BB57_2 Depth=1
	s_or_b64 exec, exec, s[42:43]
	s_waitcnt vmcnt(0)
	ds_bpermute_b32 v1, v21, v8
	ds_bpermute_b32 v2, v21, v10
	;; [unrolled: 1-line block ×5, first 2 shown]
	s_waitcnt lgkmcnt(4)
	v_cndmask_b32_e64 v1, 0, v1, s[8:9]
	ds_bpermute_b32 v14, v21, v3
	s_waitcnt lgkmcnt(4)
	v_cndmask_b32_e64 v1, v1, v2, s[6:7]
	ds_bpermute_b32 v2, v21, v6
	s_waitcnt lgkmcnt(4)
	v_cndmask_b32_e64 v0, 0, v0, s[8:9]
	s_waitcnt lgkmcnt(3)
	v_cndmask_b32_e64 v0, v0, v13, s[6:7]
	ds_bpermute_b32 v13, v21, v5
	s_waitcnt lgkmcnt(3)
	v_cndmask_b32_e64 v1, v1, v15, s[4:5]
	s_waitcnt lgkmcnt(2)
	v_cndmask_b32_e64 v0, v0, v14, s[4:5]
	;; [unrolled: 2-line block ×3, first 2 shown]
	ds_bpermute_b32 v2, v22, v8
	ds_bpermute_b32 v15, v22, v10
	;; [unrolled: 1-line block ×3, first 2 shown]
	s_waitcnt lgkmcnt(3)
	v_cndmask_b32_e64 v13, v0, v13, s[2:3]
	ds_bpermute_b32 v0, v22, v9
	s_waitcnt lgkmcnt(3)
	v_cndmask_b32_e64 v2, 0, v2, s[8:9]
	s_waitcnt lgkmcnt(2)
	v_cndmask_b32_e64 v2, v2, v15, s[6:7]
	ds_bpermute_b32 v15, v22, v3
	s_waitcnt lgkmcnt(2)
	v_cndmask_b32_e64 v1, 0, v1, s[8:9]
	ds_bpermute_b32 v17, v22, v5
	s_waitcnt lgkmcnt(2)
	v_cndmask_b32_e64 v0, v1, v0, s[6:7]
	ds_bpermute_b32 v1, v22, v4
	s_waitcnt lgkmcnt(2)
	v_cndmask_b32_e64 v0, v0, v15, s[4:5]
	ds_bpermute_b32 v16, v22, v6
	s_waitcnt lgkmcnt(2)
	v_cndmask_b32_e64 v15, v0, v17, s[2:3]
	ds_bpermute_b32 v0, v23, v8
	ds_bpermute_b32 v18, v23, v7
	s_waitcnt lgkmcnt(3)
	v_cndmask_b32_e64 v1, v2, v1, s[4:5]
	ds_bpermute_b32 v2, v23, v10
	ds_bpermute_b32 v17, v23, v9
	s_waitcnt lgkmcnt(3)
	v_cndmask_b32_e64 v0, 0, v0, s[8:9]
	ds_bpermute_b32 v19, v23, v4
	v_cndmask_b32_e64 v16, v1, v16, s[2:3]
	s_waitcnt lgkmcnt(3)
	v_cndmask_b32_e64 v1, 0, v18, s[8:9]
	ds_bpermute_b32 v18, v23, v3
	s_waitcnt lgkmcnt(3)
	v_cndmask_b32_e64 v0, v0, v2, s[6:7]
	ds_bpermute_b32 v2, v23, v6
	s_waitcnt lgkmcnt(3)
	v_cndmask_b32_e64 v1, v1, v17, s[6:7]
	s_waitcnt lgkmcnt(2)
	v_cndmask_b32_e64 v0, v0, v19, s[4:5]
	ds_bpermute_b32 v17, v23, v5
	ds_bpermute_b32 v7, v24, v7
	ds_bpermute_b32 v8, v24, v8
	s_waitcnt lgkmcnt(4)
	v_cndmask_b32_e64 v1, v1, v18, s[4:5]
	s_waitcnt lgkmcnt(3)
	v_cndmask_b32_e64 v18, v0, v2, s[2:3]
	ds_bpermute_b32 v0, v24, v10
	s_waitcnt lgkmcnt(3)
	v_cndmask_b32_e64 v17, v1, v17, s[2:3]
	s_waitcnt lgkmcnt(2)
	v_cndmask_b32_e64 v1, 0, v7, s[8:9]
	;; [unrolled: 2-line block ×3, first 2 shown]
	ds_bpermute_b32 v7, v24, v9
	s_waitcnt lgkmcnt(1)
	v_cndmask_b32_e64 v0, v2, v0, s[6:7]
	ds_bpermute_b32 v2, v24, v3
	ds_bpermute_b32 v3, v24, v4
	;; [unrolled: 1-line block ×4, first 2 shown]
	s_waitcnt lgkmcnt(4)
	v_cndmask_b32_e64 v1, v1, v7, s[6:7]
	s_waitcnt lgkmcnt(3)
	v_cndmask_b32_e64 v1, v1, v2, s[4:5]
	;; [unrolled: 2-line block ×3, first 2 shown]
	v_mov_b32_e32 v6, 0
	s_waitcnt lgkmcnt(1)
	v_cndmask_b32_e64 v20, v0, v4, s[2:3]
	s_waitcnt lgkmcnt(0)
	v_cndmask_b32_e64 v19, v1, v5, s[2:3]
	v_mov_b32_e32 v7, 0
	s_barrier
	s_barrier
	s_branch .LBB57_6
.LBB57_5:                               ;   in Loop: Header=BB57_6 Depth=2
	s_andn2_b64 vcc, exec, s[42:43]
	s_cbranch_vccz .LBB57_22
.LBB57_6:                               ;   Parent Loop BB57_2 Depth=1
                                        ; =>  This Inner Loop Header: Depth=2
	v_mov_b32_e32 v8, v13
	v_mov_b32_e32 v4, v15
	;; [unrolled: 1-line block ×4, first 2 shown]
	v_lshrrev_b64 v[14:15], v6, v[8:9]
	v_mov_b32_e32 v2, v17
	v_and_b32_e32 v10, 1, v14
	v_add_co_u32_e32 v13, vcc, -1, v10
	v_addc_co_u32_e64 v16, s[42:43], 0, -1, vcc
	v_cmp_ne_u32_e32 vcc, 0, v10
	v_xor_b32_e32 v13, vcc_lo, v13
	v_xor_b32_e32 v10, vcc_hi, v16
	v_and_b32_e32 v16, exec_lo, v13
	v_lshlrev_b32_e32 v13, 30, v14
	v_cmp_gt_i64_e32 vcc, 0, v[12:13]
	v_not_b32_e32 v13, v13
	v_ashrrev_i32_e32 v13, 31, v13
	v_mov_b32_e32 v3, v18
	v_xor_b32_e32 v17, vcc_hi, v13
	v_xor_b32_e32 v13, vcc_lo, v13
	v_and_b32_e32 v16, v16, v13
	v_lshlrev_b32_e32 v13, 29, v14
	v_cmp_gt_i64_e32 vcc, 0, v[12:13]
	v_not_b32_e32 v13, v13
	v_and_b32_e32 v10, exec_hi, v10
	v_ashrrev_i32_e32 v13, 31, v13
	v_and_b32_e32 v10, v10, v17
	v_xor_b32_e32 v17, vcc_hi, v13
	v_xor_b32_e32 v13, vcc_lo, v13
	v_and_b32_e32 v16, v16, v13
	v_lshlrev_b32_e32 v13, 28, v14
	v_cmp_gt_i64_e32 vcc, 0, v[12:13]
	v_not_b32_e32 v13, v13
	v_ashrrev_i32_e32 v13, 31, v13
	v_and_b32_e32 v10, v10, v17
	v_xor_b32_e32 v17, vcc_hi, v13
	v_xor_b32_e32 v13, vcc_lo, v13
	v_and_b32_e32 v16, v16, v13
	v_lshlrev_b32_e32 v13, 27, v14
	v_cmp_gt_i64_e32 vcc, 0, v[12:13]
	v_not_b32_e32 v13, v13
	;; [unrolled: 8-line block ×5, first 2 shown]
	v_ashrrev_i32_e32 v13, 31, v13
	v_mul_u32_u24_sdwa v15, v14, v44 dst_sel:DWORD dst_unused:UNUSED_PAD src0_sel:BYTE_0 src1_sel:DWORD
	v_xor_b32_e32 v14, vcc_hi, v13
	v_xor_b32_e32 v13, vcc_lo, v13
	v_and_b32_e32 v10, v10, v17
	v_and_b32_e32 v13, v16, v13
	;; [unrolled: 1-line block ×3, first 2 shown]
	v_mbcnt_lo_u32_b32 v10, v13, 0
	v_mbcnt_hi_u32_b32 v10, v14, v10
	v_cmp_ne_u64_e32 vcc, 0, v[13:14]
	v_mov_b32_e32 v0, v19
	v_cmp_eq_u32_e64 s[42:43], 0, v10
	v_mov_b32_e32 v1, v20
	s_and_b64 s[44:45], vcc, s[42:43]
	v_add_u32_e32 v17, v42, v15
	ds_write2_b32 v26, v12, v12 offset0:5 offset1:6
	ds_write2_b32 v26, v12, v12 offset0:7 offset1:8
	s_waitcnt lgkmcnt(0)
	s_barrier
	; wave barrier
	s_and_saveexec_b64 s[42:43], s[44:45]
; %bb.7:                                ;   in Loop: Header=BB57_6 Depth=2
	v_bcnt_u32_b32 v13, v13, 0
	v_bcnt_u32_b32 v13, v14, v13
	ds_write_b32 v17, v13 offset:20
; %bb.8:                                ;   in Loop: Header=BB57_6 Depth=2
	s_or_b64 exec, exec, s[42:43]
	v_lshrrev_b64 v[14:15], v6, v[4:5]
	v_and_b32_e32 v13, 0xff, v14
	v_mul_u32_u24_e32 v15, 20, v13
	v_mad_u32_u24 v13, v13, 20, v42
	; wave barrier
	ds_read_b32 v18, v13 offset:20
	v_and_b32_e32 v13, 1, v14
	v_add_co_u32_e32 v16, vcc, -1, v13
	v_addc_co_u32_e64 v19, s[42:43], 0, -1, vcc
	v_cmp_ne_u32_e32 vcc, 0, v13
	v_xor_b32_e32 v13, vcc_hi, v19
	v_and_b32_e32 v19, exec_hi, v13
	v_lshlrev_b32_e32 v13, 30, v14
	v_xor_b32_e32 v16, vcc_lo, v16
	v_cmp_gt_i64_e32 vcc, 0, v[12:13]
	v_not_b32_e32 v13, v13
	v_ashrrev_i32_e32 v13, 31, v13
	v_and_b32_e32 v16, exec_lo, v16
	v_xor_b32_e32 v20, vcc_hi, v13
	v_xor_b32_e32 v13, vcc_lo, v13
	v_and_b32_e32 v16, v16, v13
	v_lshlrev_b32_e32 v13, 29, v14
	v_cmp_gt_i64_e32 vcc, 0, v[12:13]
	v_not_b32_e32 v13, v13
	v_ashrrev_i32_e32 v13, 31, v13
	v_and_b32_e32 v19, v19, v20
	v_xor_b32_e32 v20, vcc_hi, v13
	v_xor_b32_e32 v13, vcc_lo, v13
	v_and_b32_e32 v16, v16, v13
	v_lshlrev_b32_e32 v13, 28, v14
	v_cmp_gt_i64_e32 vcc, 0, v[12:13]
	v_not_b32_e32 v13, v13
	v_ashrrev_i32_e32 v13, 31, v13
	v_and_b32_e32 v19, v19, v20
	v_xor_b32_e32 v20, vcc_hi, v13
	v_xor_b32_e32 v13, vcc_lo, v13
	v_and_b32_e32 v16, v16, v13
	v_lshlrev_b32_e32 v13, 27, v14
	v_cmp_gt_i64_e32 vcc, 0, v[12:13]
	v_not_b32_e32 v13, v13
	v_ashrrev_i32_e32 v13, 31, v13
	v_and_b32_e32 v19, v19, v20
	v_xor_b32_e32 v20, vcc_hi, v13
	v_xor_b32_e32 v13, vcc_lo, v13
	v_and_b32_e32 v16, v16, v13
	v_lshlrev_b32_e32 v13, 26, v14
	v_cmp_gt_i64_e32 vcc, 0, v[12:13]
	v_not_b32_e32 v13, v13
	v_ashrrev_i32_e32 v13, 31, v13
	v_and_b32_e32 v19, v19, v20
	v_xor_b32_e32 v20, vcc_hi, v13
	v_xor_b32_e32 v13, vcc_lo, v13
	v_and_b32_e32 v16, v16, v13
	v_lshlrev_b32_e32 v13, 25, v14
	v_cmp_gt_i64_e32 vcc, 0, v[12:13]
	v_not_b32_e32 v13, v13
	v_ashrrev_i32_e32 v13, 31, v13
	v_and_b32_e32 v19, v19, v20
	v_xor_b32_e32 v20, vcc_hi, v13
	v_xor_b32_e32 v13, vcc_lo, v13
	v_and_b32_e32 v16, v16, v13
	v_lshlrev_b32_e32 v13, 24, v14
	v_cmp_gt_i64_e32 vcc, 0, v[12:13]
	v_not_b32_e32 v13, v13
	v_ashrrev_i32_e32 v13, 31, v13
	v_xor_b32_e32 v14, vcc_hi, v13
	v_xor_b32_e32 v13, vcc_lo, v13
	v_and_b32_e32 v19, v19, v20
	v_and_b32_e32 v13, v16, v13
	;; [unrolled: 1-line block ×3, first 2 shown]
	v_mbcnt_lo_u32_b32 v16, v13, 0
	v_mbcnt_hi_u32_b32 v19, v14, v16
	v_cmp_ne_u64_e32 vcc, 0, v[13:14]
	v_cmp_eq_u32_e64 s[42:43], 0, v19
	s_and_b64 s[44:45], vcc, s[42:43]
	v_add_u32_e32 v20, v42, v15
	; wave barrier
	s_and_saveexec_b64 s[42:43], s[44:45]
	s_cbranch_execz .LBB57_10
; %bb.9:                                ;   in Loop: Header=BB57_6 Depth=2
	v_bcnt_u32_b32 v13, v13, 0
	v_bcnt_u32_b32 v13, v14, v13
	s_waitcnt lgkmcnt(0)
	v_add_u32_e32 v13, v18, v13
	ds_write_b32 v20, v13 offset:20
.LBB57_10:                              ;   in Loop: Header=BB57_6 Depth=2
	s_or_b64 exec, exec, s[42:43]
	v_lshrrev_b64 v[14:15], v6, v[2:3]
	v_and_b32_e32 v13, 0xff, v14
	v_mul_u32_u24_e32 v15, 20, v13
	v_mad_u32_u24 v13, v13, 20, v42
	; wave barrier
	ds_read_b32 v46, v13 offset:20
	v_and_b32_e32 v13, 1, v14
	v_add_co_u32_e32 v16, vcc, -1, v13
	v_addc_co_u32_e64 v47, s[42:43], 0, -1, vcc
	v_cmp_ne_u32_e32 vcc, 0, v13
	v_xor_b32_e32 v13, vcc_hi, v47
	v_and_b32_e32 v47, exec_hi, v13
	v_lshlrev_b32_e32 v13, 30, v14
	v_xor_b32_e32 v16, vcc_lo, v16
	v_cmp_gt_i64_e32 vcc, 0, v[12:13]
	v_not_b32_e32 v13, v13
	v_ashrrev_i32_e32 v13, 31, v13
	v_and_b32_e32 v16, exec_lo, v16
	v_xor_b32_e32 v48, vcc_hi, v13
	v_xor_b32_e32 v13, vcc_lo, v13
	v_and_b32_e32 v16, v16, v13
	v_lshlrev_b32_e32 v13, 29, v14
	v_cmp_gt_i64_e32 vcc, 0, v[12:13]
	v_not_b32_e32 v13, v13
	v_ashrrev_i32_e32 v13, 31, v13
	v_and_b32_e32 v47, v47, v48
	v_xor_b32_e32 v48, vcc_hi, v13
	v_xor_b32_e32 v13, vcc_lo, v13
	v_and_b32_e32 v16, v16, v13
	v_lshlrev_b32_e32 v13, 28, v14
	v_cmp_gt_i64_e32 vcc, 0, v[12:13]
	v_not_b32_e32 v13, v13
	v_ashrrev_i32_e32 v13, 31, v13
	v_and_b32_e32 v47, v47, v48
	;; [unrolled: 8-line block ×5, first 2 shown]
	v_xor_b32_e32 v48, vcc_hi, v13
	v_xor_b32_e32 v13, vcc_lo, v13
	v_and_b32_e32 v16, v16, v13
	v_lshlrev_b32_e32 v13, 24, v14
	v_cmp_gt_i64_e32 vcc, 0, v[12:13]
	v_not_b32_e32 v13, v13
	v_ashrrev_i32_e32 v13, 31, v13
	v_xor_b32_e32 v14, vcc_hi, v13
	v_xor_b32_e32 v13, vcc_lo, v13
	v_and_b32_e32 v47, v47, v48
	v_and_b32_e32 v13, v16, v13
	;; [unrolled: 1-line block ×3, first 2 shown]
	v_mbcnt_lo_u32_b32 v16, v13, 0
	v_mbcnt_hi_u32_b32 v47, v14, v16
	v_cmp_ne_u64_e32 vcc, 0, v[13:14]
	v_cmp_eq_u32_e64 s[42:43], 0, v47
	s_and_b64 s[44:45], vcc, s[42:43]
	v_add_u32_e32 v48, v42, v15
	; wave barrier
	s_and_saveexec_b64 s[42:43], s[44:45]
	s_cbranch_execz .LBB57_12
; %bb.11:                               ;   in Loop: Header=BB57_6 Depth=2
	v_bcnt_u32_b32 v13, v13, 0
	v_bcnt_u32_b32 v13, v14, v13
	s_waitcnt lgkmcnt(0)
	v_add_u32_e32 v13, v46, v13
	ds_write_b32 v48, v13 offset:20
.LBB57_12:                              ;   in Loop: Header=BB57_6 Depth=2
	s_or_b64 exec, exec, s[42:43]
	v_lshrrev_b64 v[14:15], v6, v[0:1]
	v_and_b32_e32 v13, 0xff, v14
	v_mul_u32_u24_e32 v15, 20, v13
	v_mad_u32_u24 v13, v13, 20, v42
	; wave barrier
	ds_read_b32 v49, v13 offset:20
	v_and_b32_e32 v13, 1, v14
	v_add_co_u32_e32 v16, vcc, -1, v13
	v_addc_co_u32_e64 v50, s[42:43], 0, -1, vcc
	v_cmp_ne_u32_e32 vcc, 0, v13
	v_xor_b32_e32 v13, vcc_hi, v50
	v_and_b32_e32 v50, exec_hi, v13
	v_lshlrev_b32_e32 v13, 30, v14
	v_xor_b32_e32 v16, vcc_lo, v16
	v_cmp_gt_i64_e32 vcc, 0, v[12:13]
	v_not_b32_e32 v13, v13
	v_ashrrev_i32_e32 v13, 31, v13
	v_and_b32_e32 v16, exec_lo, v16
	v_xor_b32_e32 v51, vcc_hi, v13
	v_xor_b32_e32 v13, vcc_lo, v13
	v_and_b32_e32 v16, v16, v13
	v_lshlrev_b32_e32 v13, 29, v14
	v_cmp_gt_i64_e32 vcc, 0, v[12:13]
	v_not_b32_e32 v13, v13
	v_ashrrev_i32_e32 v13, 31, v13
	v_and_b32_e32 v50, v50, v51
	v_xor_b32_e32 v51, vcc_hi, v13
	v_xor_b32_e32 v13, vcc_lo, v13
	v_and_b32_e32 v16, v16, v13
	v_lshlrev_b32_e32 v13, 28, v14
	v_cmp_gt_i64_e32 vcc, 0, v[12:13]
	v_not_b32_e32 v13, v13
	v_ashrrev_i32_e32 v13, 31, v13
	v_and_b32_e32 v50, v50, v51
	;; [unrolled: 8-line block ×5, first 2 shown]
	v_xor_b32_e32 v51, vcc_hi, v13
	v_xor_b32_e32 v13, vcc_lo, v13
	v_and_b32_e32 v16, v16, v13
	v_lshlrev_b32_e32 v13, 24, v14
	v_cmp_gt_i64_e32 vcc, 0, v[12:13]
	v_not_b32_e32 v13, v13
	v_ashrrev_i32_e32 v13, 31, v13
	v_xor_b32_e32 v14, vcc_hi, v13
	v_xor_b32_e32 v13, vcc_lo, v13
	v_and_b32_e32 v50, v50, v51
	v_and_b32_e32 v13, v16, v13
	;; [unrolled: 1-line block ×3, first 2 shown]
	v_mbcnt_lo_u32_b32 v16, v13, 0
	v_mbcnt_hi_u32_b32 v50, v14, v16
	v_cmp_ne_u64_e32 vcc, 0, v[13:14]
	v_cmp_eq_u32_e64 s[42:43], 0, v50
	s_and_b64 s[44:45], vcc, s[42:43]
	v_add_u32_e32 v51, v42, v15
	; wave barrier
	s_and_saveexec_b64 s[42:43], s[44:45]
	s_cbranch_execz .LBB57_14
; %bb.13:                               ;   in Loop: Header=BB57_6 Depth=2
	v_bcnt_u32_b32 v13, v13, 0
	v_bcnt_u32_b32 v13, v14, v13
	s_waitcnt lgkmcnt(0)
	v_add_u32_e32 v13, v49, v13
	ds_write_b32 v51, v13 offset:20
.LBB57_14:                              ;   in Loop: Header=BB57_6 Depth=2
	s_or_b64 exec, exec, s[42:43]
	; wave barrier
	s_waitcnt lgkmcnt(0)
	s_barrier
	ds_read2_b32 v[15:16], v26 offset0:5 offset1:6
	ds_read2_b32 v[13:14], v26 offset0:7 offset1:8
	s_waitcnt lgkmcnt(1)
	v_add_u32_e32 v52, v16, v15
	s_waitcnt lgkmcnt(0)
	v_add3_u32 v14, v52, v13, v14
	s_nop 1
	v_mov_b32_dpp v52, v14 row_shr:1 row_mask:0xf bank_mask:0xf
	v_cndmask_b32_e64 v52, v52, 0, s[10:11]
	v_add_u32_e32 v14, v52, v14
	s_nop 1
	v_mov_b32_dpp v52, v14 row_shr:2 row_mask:0xf bank_mask:0xf
	v_cndmask_b32_e64 v52, 0, v52, s[12:13]
	v_add_u32_e32 v14, v14, v52
	s_nop 1
	v_mov_b32_dpp v52, v14 row_shr:4 row_mask:0xf bank_mask:0xf
	v_cndmask_b32_e64 v52, 0, v52, s[14:15]
	v_add_u32_e32 v14, v14, v52
	s_nop 1
	v_mov_b32_dpp v52, v14 row_shr:8 row_mask:0xf bank_mask:0xf
	v_cndmask_b32_e64 v52, 0, v52, s[16:17]
	v_add_u32_e32 v14, v14, v52
	s_nop 1
	v_mov_b32_dpp v52, v14 row_bcast:15 row_mask:0xf bank_mask:0xf
	v_cndmask_b32_e64 v52, v52, 0, s[18:19]
	v_add_u32_e32 v14, v14, v52
	s_nop 1
	v_mov_b32_dpp v52, v14 row_bcast:31 row_mask:0xf bank_mask:0xf
	v_cndmask_b32_e64 v52, 0, v52, s[20:21]
	v_add_u32_e32 v14, v14, v52
	s_and_saveexec_b64 s[42:43], s[22:23]
; %bb.15:                               ;   in Loop: Header=BB57_6 Depth=2
	ds_write_b32 v28, v14
; %bb.16:                               ;   in Loop: Header=BB57_6 Depth=2
	s_or_b64 exec, exec, s[42:43]
	s_waitcnt lgkmcnt(0)
	s_barrier
	s_and_saveexec_b64 s[42:43], s[24:25]
	s_cbranch_execz .LBB57_18
; %bb.17:                               ;   in Loop: Header=BB57_6 Depth=2
	ds_read_b32 v52, v29
	s_waitcnt lgkmcnt(0)
	s_nop 0
	v_mov_b32_dpp v53, v52 row_shr:1 row_mask:0xf bank_mask:0xf
	v_cndmask_b32_e64 v53, v53, 0, s[36:37]
	v_add_u32_e32 v52, v53, v52
	s_nop 1
	v_mov_b32_dpp v53, v52 row_shr:2 row_mask:0xf bank_mask:0xf
	v_cndmask_b32_e64 v53, 0, v53, s[38:39]
	v_add_u32_e32 v52, v52, v53
	;; [unrolled: 4-line block ×3, first 2 shown]
	ds_write_b32 v29, v52
.LBB57_18:                              ;   in Loop: Header=BB57_6 Depth=2
	s_or_b64 exec, exec, s[42:43]
	v_mov_b32_e32 v52, 0
	s_waitcnt lgkmcnt(0)
	s_barrier
	s_and_saveexec_b64 s[42:43], s[26:27]
; %bb.19:                               ;   in Loop: Header=BB57_6 Depth=2
	ds_read_b32 v52, v30
; %bb.20:                               ;   in Loop: Header=BB57_6 Depth=2
	s_or_b64 exec, exec, s[42:43]
	s_waitcnt lgkmcnt(0)
	v_add_u32_e32 v14, v52, v14
	ds_bpermute_b32 v14, v27, v14
	v_cmp_lt_u32_e32 vcc, 55, v6
	s_and_b64 vcc, exec, vcc
	s_mov_b64 s[42:43], -1
	s_waitcnt lgkmcnt(0)
	v_cndmask_b32_e64 v14, v14, v52, s[28:29]
	v_cndmask_b32_e64 v14, v14, 0, s[30:31]
	v_add_u32_e32 v15, v14, v15
	v_add_u32_e32 v16, v15, v16
	;; [unrolled: 1-line block ×3, first 2 shown]
	ds_write2_b32 v26, v14, v15 offset0:5 offset1:6
	ds_write2_b32 v26, v16, v13 offset0:7 offset1:8
	s_waitcnt lgkmcnt(0)
	s_barrier
	ds_read_b32 v13, v17 offset:20
	ds_read_b32 v14, v20 offset:20
	;; [unrolled: 1-line block ×4, first 2 shown]
	s_waitcnt lgkmcnt(3)
	v_add_u32_e32 v51, v13, v10
	s_waitcnt lgkmcnt(2)
	v_add3_u32 v48, v19, v18, v14
	s_waitcnt lgkmcnt(1)
	v_add3_u32 v46, v47, v46, v15
	;; [unrolled: 2-line block ×3, first 2 shown]
                                        ; implicit-def: $vgpr13_vgpr14
                                        ; implicit-def: $vgpr15_vgpr16
                                        ; implicit-def: $vgpr17_vgpr18
                                        ; implicit-def: $vgpr19_vgpr20
	s_cbranch_vccnz .LBB57_5
; %bb.21:                               ;   in Loop: Header=BB57_6 Depth=2
	v_lshrrev_b32_e32 v13, 2, v51
	v_and_b32_e32 v13, 0x3ffffff8, v13
	v_lshl_add_u32 v13, v51, 3, v13
	s_barrier
	ds_write_b64 v13, v[8:9]
	v_lshrrev_b32_e32 v13, 2, v48
	v_and_b32_e32 v13, 0x3ffffff8, v13
	v_lshl_add_u32 v13, v48, 3, v13
	ds_write_b64 v13, v[4:5]
	v_lshrrev_b32_e32 v13, 2, v46
	v_and_b32_e32 v13, 0x3ffffff8, v13
	v_lshl_add_u32 v13, v46, 3, v13
	;; [unrolled: 4-line block ×3, first 2 shown]
	ds_write_b64 v13, v[0:1]
	s_waitcnt lgkmcnt(0)
	s_barrier
	ds_read_b64 v[13:14], v31
	ds_read_b64 v[15:16], v33 offset:512
	ds_read_b64 v[17:18], v34 offset:1024
	;; [unrolled: 1-line block ×3, first 2 shown]
	v_add_co_u32_e32 v6, vcc, 8, v6
	v_addc_co_u32_e32 v7, vcc, 0, v7, vcc
	s_mov_b64 s[42:43], 0
	s_waitcnt lgkmcnt(0)
	s_barrier
	s_branch .LBB57_5
.LBB57_22:                              ;   in Loop: Header=BB57_2 Depth=1
	v_lshrrev_b32_e32 v6, 2, v51
	v_and_b32_e32 v6, 0x3ffffff8, v6
	v_lshl_add_u32 v6, v51, 3, v6
	s_barrier
	ds_write_b64 v6, v[8:9]
	v_lshrrev_b32_e32 v6, 2, v48
	v_and_b32_e32 v6, 0x3ffffff8, v6
	v_lshl_add_u32 v6, v48, 3, v6
	ds_write_b64 v6, v[4:5]
	v_lshrrev_b32_e32 v4, 2, v46
	v_and_b32_e32 v4, 0x3ffffff8, v4
	v_lshl_add_u32 v4, v46, 3, v4
	;; [unrolled: 4-line block ×3, first 2 shown]
	ds_write_b64 v2, v[0:1]
	s_waitcnt lgkmcnt(0)
	s_barrier
	ds_read2_b64 v[7:10], v36 offset1:1
	ds_read2_b64 v[3:6], v36 offset0:2 offset1:3
	s_waitcnt lgkmcnt(0)
	s_barrier
	s_and_saveexec_b64 s[42:43], s[0:1]
; %bb.23:                               ;   in Loop: Header=BB57_2 Depth=1
	ds_write2st64_b32 v45, v43, v43 offset0:20 offset1:25
; %bb.24:                               ;   in Loop: Header=BB57_2 Depth=1
	s_or_b64 exec, exec, s[42:43]
	v_cmp_ne_u32_e32 vcc, v3, v5
	v_lshlrev_b32_e32 v0, 2, v3
	s_waitcnt lgkmcnt(0)
	s_barrier
	ds_write_b64 v37, v[5:6]
	s_and_saveexec_b64 s[42:43], vcc
	s_cbranch_execz .LBB57_26
; %bb.25:                               ;   in Loop: Header=BB57_2 Depth=1
	v_lshlrev_b32_e32 v1, 2, v5
	ds_write_b32 v1, v38 offset:5120
	ds_write_b32 v0, v38 offset:6400
.LBB57_26:                              ;   in Loop: Header=BB57_2 Depth=1
	s_or_b64 exec, exec, s[42:43]
	v_cmp_ne_u32_e32 vcc, v3, v9
	v_lshlrev_b32_e32 v1, 2, v9
	v_mov_b32_e32 v2, v3
	s_and_saveexec_b64 s[42:43], vcc
	s_cbranch_execz .LBB57_28
; %bb.27:                               ;   in Loop: Header=BB57_2 Depth=1
	v_mov_b32_e32 v2, v9
	ds_write_b32 v0, v39 offset:5120
	ds_write_b32 v1, v39 offset:6400
.LBB57_28:                              ;   in Loop: Header=BB57_2 Depth=1
	s_or_b64 exec, exec, s[42:43]
	v_cmp_ne_u32_e32 vcc, v2, v7
	v_lshlrev_b32_e32 v0, 2, v7
	s_and_saveexec_b64 s[42:43], vcc
	s_cbranch_execz .LBB57_30
; %bb.29:                               ;   in Loop: Header=BB57_2 Depth=1
	ds_write_b32 v1, v40 offset:5120
	ds_write_b32 v0, v40 offset:6400
.LBB57_30:                              ;   in Loop: Header=BB57_2 Depth=1
	s_or_b64 exec, exec, s[42:43]
	s_waitcnt lgkmcnt(0)
	s_barrier
	s_and_saveexec_b64 s[42:43], s[34:35]
	s_cbranch_execz .LBB57_33
; %bb.31:                               ;   in Loop: Header=BB57_2 Depth=1
	ds_read_b32 v1, v41
	s_waitcnt lgkmcnt(0)
	v_cmp_ne_u32_e32 vcc, v1, v7
	s_and_b64 exec, exec, vcc
	s_cbranch_execz .LBB57_33
; %bb.32:                               ;   in Loop: Header=BB57_2 Depth=1
	ds_write_b32 v0, v25 offset:5120
	ds_read_b32 v1, v41
	s_waitcnt lgkmcnt(0)
	v_lshlrev_b32_e32 v1, 2, v1
	ds_write_b32 v1, v25 offset:6400
.LBB57_33:                              ;   in Loop: Header=BB57_2 Depth=1
	s_or_b64 exec, exec, s[42:43]
	s_waitcnt lgkmcnt(0)
	s_barrier
	s_and_saveexec_b64 s[42:43], s[30:31]
; %bb.34:                               ;   in Loop: Header=BB57_2 Depth=1
	ds_write_b32 v0, v12 offset:5120
; %bb.35:                               ;   in Loop: Header=BB57_2 Depth=1
	s_or_b64 exec, exec, s[42:43]
	s_waitcnt lgkmcnt(0)
	s_barrier
	s_and_saveexec_b64 s[42:43], s[0:1]
	s_cbranch_execz .LBB57_1
; %bb.36:                               ;   in Loop: Header=BB57_2 Depth=1
	ds_read2st64_b32 v[0:1], v45 offset0:20 offset1:25
	ds_read_b64 v[13:14], v32
	s_waitcnt lgkmcnt(1)
	v_sub_u32_e32 v0, v1, v0
	s_waitcnt lgkmcnt(0)
	v_add_co_u32_e32 v0, vcc, v13, v0
	v_addc_co_u32_e32 v1, vcc, 0, v14, vcc
	ds_write_b64 v32, v[0:1]
	s_branch .LBB57_1
.LBB57_37:
	s_and_saveexec_b64 s[2:3], s[0:1]
	s_cbranch_execz .LBB57_39
; %bb.38:
	v_mov_b32_e32 v12, 0
	ds_read_b64 v[2:3], v32
	v_lshlrev_b64 v[0:1], 3, v[11:12]
	v_mov_b32_e32 v4, s47
	v_add_co_u32_e32 v0, vcc, s46, v0
	v_addc_co_u32_e32 v1, vcc, v4, v1, vcc
	s_waitcnt lgkmcnt(0)
	global_store_dwordx2 v[0:1], v[2:3], off
.LBB57_39:
	s_endpgm
	.section	.rodata,"a",@progbits
	.p2align	6, 0x0
	.amdhsa_kernel _Z6kernelI9histogramILN6hipcub23BlockHistogramAlgorithmE1EEyLj320ELj4ELj320ELj100EEvPKT0_PS4_
		.amdhsa_group_segment_fixed_size 13120
		.amdhsa_private_segment_fixed_size 0
		.amdhsa_kernarg_size 272
		.amdhsa_user_sgpr_count 6
		.amdhsa_user_sgpr_private_segment_buffer 1
		.amdhsa_user_sgpr_dispatch_ptr 0
		.amdhsa_user_sgpr_queue_ptr 0
		.amdhsa_user_sgpr_kernarg_segment_ptr 1
		.amdhsa_user_sgpr_dispatch_id 0
		.amdhsa_user_sgpr_flat_scratch_init 0
		.amdhsa_user_sgpr_private_segment_size 0
		.amdhsa_uses_dynamic_stack 0
		.amdhsa_system_sgpr_private_segment_wavefront_offset 0
		.amdhsa_system_sgpr_workgroup_id_x 1
		.amdhsa_system_sgpr_workgroup_id_y 0
		.amdhsa_system_sgpr_workgroup_id_z 0
		.amdhsa_system_sgpr_workgroup_info 0
		.amdhsa_system_vgpr_workitem_id 2
		.amdhsa_next_free_vgpr 54
		.amdhsa_next_free_sgpr 98
		.amdhsa_reserve_vcc 1
		.amdhsa_reserve_flat_scratch 0
		.amdhsa_float_round_mode_32 0
		.amdhsa_float_round_mode_16_64 0
		.amdhsa_float_denorm_mode_32 3
		.amdhsa_float_denorm_mode_16_64 3
		.amdhsa_dx10_clamp 1
		.amdhsa_ieee_mode 1
		.amdhsa_fp16_overflow 0
		.amdhsa_exception_fp_ieee_invalid_op 0
		.amdhsa_exception_fp_denorm_src 0
		.amdhsa_exception_fp_ieee_div_zero 0
		.amdhsa_exception_fp_ieee_overflow 0
		.amdhsa_exception_fp_ieee_underflow 0
		.amdhsa_exception_fp_ieee_inexact 0
		.amdhsa_exception_int_div_zero 0
	.end_amdhsa_kernel
	.section	.text._Z6kernelI9histogramILN6hipcub23BlockHistogramAlgorithmE1EEyLj320ELj4ELj320ELj100EEvPKT0_PS4_,"axG",@progbits,_Z6kernelI9histogramILN6hipcub23BlockHistogramAlgorithmE1EEyLj320ELj4ELj320ELj100EEvPKT0_PS4_,comdat
.Lfunc_end57:
	.size	_Z6kernelI9histogramILN6hipcub23BlockHistogramAlgorithmE1EEyLj320ELj4ELj320ELj100EEvPKT0_PS4_, .Lfunc_end57-_Z6kernelI9histogramILN6hipcub23BlockHistogramAlgorithmE1EEyLj320ELj4ELj320ELj100EEvPKT0_PS4_
                                        ; -- End function
	.set _Z6kernelI9histogramILN6hipcub23BlockHistogramAlgorithmE1EEyLj320ELj4ELj320ELj100EEvPKT0_PS4_.num_vgpr, 54
	.set _Z6kernelI9histogramILN6hipcub23BlockHistogramAlgorithmE1EEyLj320ELj4ELj320ELj100EEvPKT0_PS4_.num_agpr, 0
	.set _Z6kernelI9histogramILN6hipcub23BlockHistogramAlgorithmE1EEyLj320ELj4ELj320ELj100EEvPKT0_PS4_.numbered_sgpr, 48
	.set _Z6kernelI9histogramILN6hipcub23BlockHistogramAlgorithmE1EEyLj320ELj4ELj320ELj100EEvPKT0_PS4_.num_named_barrier, 0
	.set _Z6kernelI9histogramILN6hipcub23BlockHistogramAlgorithmE1EEyLj320ELj4ELj320ELj100EEvPKT0_PS4_.private_seg_size, 0
	.set _Z6kernelI9histogramILN6hipcub23BlockHistogramAlgorithmE1EEyLj320ELj4ELj320ELj100EEvPKT0_PS4_.uses_vcc, 1
	.set _Z6kernelI9histogramILN6hipcub23BlockHistogramAlgorithmE1EEyLj320ELj4ELj320ELj100EEvPKT0_PS4_.uses_flat_scratch, 0
	.set _Z6kernelI9histogramILN6hipcub23BlockHistogramAlgorithmE1EEyLj320ELj4ELj320ELj100EEvPKT0_PS4_.has_dyn_sized_stack, 0
	.set _Z6kernelI9histogramILN6hipcub23BlockHistogramAlgorithmE1EEyLj320ELj4ELj320ELj100EEvPKT0_PS4_.has_recursion, 0
	.set _Z6kernelI9histogramILN6hipcub23BlockHistogramAlgorithmE1EEyLj320ELj4ELj320ELj100EEvPKT0_PS4_.has_indirect_call, 0
	.section	.AMDGPU.csdata,"",@progbits
; Kernel info:
; codeLenInByte = 4036
; TotalNumSgprs: 52
; NumVgprs: 54
; ScratchSize: 0
; MemoryBound: 0
; FloatMode: 240
; IeeeMode: 1
; LDSByteSize: 13120 bytes/workgroup (compile time only)
; SGPRBlocks: 12
; VGPRBlocks: 13
; NumSGPRsForWavesPerEU: 102
; NumVGPRsForWavesPerEU: 54
; Occupancy: 4
; WaveLimiterHint : 0
; COMPUTE_PGM_RSRC2:SCRATCH_EN: 0
; COMPUTE_PGM_RSRC2:USER_SGPR: 6
; COMPUTE_PGM_RSRC2:TRAP_HANDLER: 0
; COMPUTE_PGM_RSRC2:TGID_X_EN: 1
; COMPUTE_PGM_RSRC2:TGID_Y_EN: 0
; COMPUTE_PGM_RSRC2:TGID_Z_EN: 0
; COMPUTE_PGM_RSRC2:TIDIG_COMP_CNT: 2
	.section	.text._Z6kernelI9histogramILN6hipcub23BlockHistogramAlgorithmE1EEyLj320ELj8ELj320ELj100EEvPKT0_PS4_,"axG",@progbits,_Z6kernelI9histogramILN6hipcub23BlockHistogramAlgorithmE1EEyLj320ELj8ELj320ELj100EEvPKT0_PS4_,comdat
	.protected	_Z6kernelI9histogramILN6hipcub23BlockHistogramAlgorithmE1EEyLj320ELj8ELj320ELj100EEvPKT0_PS4_ ; -- Begin function _Z6kernelI9histogramILN6hipcub23BlockHistogramAlgorithmE1EEyLj320ELj8ELj320ELj100EEvPKT0_PS4_
	.globl	_Z6kernelI9histogramILN6hipcub23BlockHistogramAlgorithmE1EEyLj320ELj8ELj320ELj100EEvPKT0_PS4_
	.p2align	8
	.type	_Z6kernelI9histogramILN6hipcub23BlockHistogramAlgorithmE1EEyLj320ELj8ELj320ELj100EEvPKT0_PS4_,@function
_Z6kernelI9histogramILN6hipcub23BlockHistogramAlgorithmE1EEyLj320ELj8ELj320ELj100EEvPKT0_PS4_: ; @_Z6kernelI9histogramILN6hipcub23BlockHistogramAlgorithmE1EEyLj320ELj8ELj320ELj100EEvPKT0_PS4_
; %bb.0:
	s_mulk_i32 s6, 0x140
	s_load_dwordx4 s[36:39], s[4:5], 0x0
	s_load_dword s2, s[4:5], 0x1c
	v_add_u32_e32 v19, s6, v0
	v_mov_b32_e32 v20, 0
	v_lshlrev_b32_e32 v3, 3, v19
	v_mov_b32_e32 v4, v20
	v_lshlrev_b64 v[3:4], 3, v[3:4]
	s_waitcnt lgkmcnt(0)
	v_mov_b32_e32 v5, s37
	v_add_co_u32_e32 v21, vcc, s36, v3
	v_addc_co_u32_e32 v22, vcc, v5, v4, vcc
	global_load_dwordx4 v[3:6], v[21:22], off offset:48
	global_load_dwordx4 v[7:10], v[21:22], off offset:32
	;; [unrolled: 1-line block ×3, first 2 shown]
	global_load_dwordx4 v[15:18], v[21:22], off
	v_mbcnt_lo_u32_b32 v21, -1, 0
	v_mbcnt_hi_u32_b32 v21, -1, v21
	v_and_b32_e32 v22, 0x1c0, v0
	v_add_u32_e32 v23, v21, v22
	v_lshlrev_b32_e32 v24, 1, v23
	v_lshlrev_b32_e32 v37, 3, v0
	v_and_b32_e32 v24, 0x7f8, v24
	s_movk_i32 s3, 0xe00
	v_lshl_add_u32 v38, v23, 6, v24
	v_and_or_b32 v23, v37, s3, v21
	v_lshrrev_b32_e32 v24, 2, v23
	v_and_b32_e32 v24, 0x398, v24
	v_lshlrev_b32_e32 v25, 3, v23
	v_add_u32_e32 v39, v24, v25
	v_add_u32_e32 v24, 64, v23
	v_lshrrev_b32_e32 v24, 2, v24
	v_and_b32_e32 v24, 0x3b8, v24
	s_lshr_b32 s3, s2, 16
	v_add_u32_e32 v40, v24, v25
	v_or_b32_e32 v24, 0x80, v23
	s_and_b32 s2, s2, 0xffff
	v_mad_u32_u24 v1, v2, s3, v1
	v_lshrrev_b32_e32 v24, 2, v24
	v_mad_u64_u32 v[1:2], s[2:3], v1, s2, v[0:1]
	v_and_b32_e32 v24, 0x3b8, v24
	v_and_b32_e32 v2, 15, v21
	v_add_u32_e32 v41, v24, v25
	v_add_u32_e32 v24, 0xc0, v23
	v_cmp_eq_u32_e64 s[2:3], 0, v2
	v_cmp_lt_u32_e64 s[4:5], 1, v2
	v_cmp_lt_u32_e64 s[6:7], 3, v2
	;; [unrolled: 1-line block ×3, first 2 shown]
	v_and_b32_e32 v2, 16, v21
	v_lshrrev_b32_e32 v24, 2, v24
	v_cmp_eq_u32_e64 s[10:11], 0, v2
	v_min_u32_e32 v2, 0x100, v22
	v_and_b32_e32 v24, 0x3f8, v24
	v_or_b32_e32 v2, 63, v2
	v_add_u32_e32 v42, v24, v25
	v_or_b32_e32 v24, 0x100, v23
	v_cmp_eq_u32_e64 s[14:15], v0, v2
	v_subrev_co_u32_e64 v2, s[20:21], 1, v21
	v_and_b32_e32 v22, 64, v21
	v_lshrrev_b32_e32 v24, 2, v24
	v_cmp_lt_i32_e32 vcc, v2, v22
	v_and_b32_e32 v24, 0x3d8, v24
	v_cndmask_b32_e32 v2, v2, v21, vcc
	v_add_u32_e32 v43, v24, v25
	v_add_u32_e32 v24, 0x140, v23
	v_lshlrev_b32_e32 v49, 2, v2
	v_lshrrev_b32_e32 v2, 4, v0
	v_lshrrev_b32_e32 v24, 2, v24
	v_and_b32_e32 v50, 28, v2
	v_and_b32_e32 v2, 7, v21
	v_and_b32_e32 v24, 0x3f8, v24
	v_cmp_eq_u32_e64 s[26:27], 0, v2
	v_cmp_lt_u32_e64 s[28:29], 1, v2
	v_cmp_lt_u32_e64 s[30:31], 3, v2
	v_lshlrev_b32_e32 v2, 1, v0
	s_movk_i32 s0, 0x140
	v_add_u32_e32 v44, v24, v25
	v_or_b32_e32 v24, 0x180, v23
	v_add_u32_e32 v23, 0x1c0, v23
	v_lshlrev_b32_e32 v47, 4, v0
	v_and_b32_e32 v2, 0x3f8, v2
	v_cmp_gt_u32_e64 s[0:1], s0, v0
	v_lshrrev_b32_e32 v24, 2, v24
	v_lshrrev_b32_e32 v23, 2, v23
	v_cmp_gt_u32_e64 s[16:17], 5, v0
	v_cmp_lt_u32_e64 s[18:19], 63, v0
	v_cmp_eq_u32_e64 s[22:23], 0, v0
	v_cmp_ne_u32_e64 s[24:25], 0, v0
	v_mad_i32_i24 v51, v0, -12, v47
	v_lshl_add_u32 v53, v0, 6, v2
	v_lshlrev_b32_e32 v0, 2, v0
	v_and_b32_e32 v24, 0x3f8, v24
	v_and_b32_e32 v23, 0x7f8, v23
	v_add_u32_e32 v54, v51, v0
	v_sub_u32_e32 v0, 0, v0
	v_lshrrev_b32_e32 v1, 4, v1
	s_mov_b32 s33, 0
	v_add_u32_e32 v45, v24, v25
	v_add_u32_e32 v46, v23, v25
	v_cmp_lt_u32_e64 s[12:13], 31, v21
	v_add_u32_e32 v52, -4, v50
	v_add_u32_e32 v48, 0x5280, v37
	v_or_b32_e32 v55, 7, v37
	v_or_b32_e32 v56, 6, v37
	;; [unrolled: 1-line block ×7, first 2 shown]
	v_add_u32_e32 v62, -8, v54
	v_and_b32_e32 v63, 0xffffffc, v1
	v_mov_b32_e32 v64, 0xa00
	v_mov_b32_e32 v65, 20
	v_add_u32_e32 v66, v54, v0
	s_branch .LBB58_2
.LBB58_1:                               ;   in Loop: Header=BB58_2 Depth=1
	s_or_b64 exec, exec, s[34:35]
	s_add_i32 s33, s33, 1
	s_cmpk_lg_i32 s33, 0x64
	s_cbranch_scc0 .LBB58_53
.LBB58_2:                               ; =>This Loop Header: Depth=1
                                        ;     Child Loop BB58_6 Depth 2
	s_and_saveexec_b64 s[34:35], s[0:1]
; %bb.3:                                ;   in Loop: Header=BB58_2 Depth=1
	v_mov_b32_e32 v21, v20
	ds_write_b64 v48, v[20:21]
; %bb.4:                                ;   in Loop: Header=BB58_2 Depth=1
	s_or_b64 exec, exec, s[34:35]
	s_waitcnt vmcnt(0) lgkmcnt(0)
	s_barrier
	ds_write2_b64 v38, v[15:16], v[17:18] offset1:1
	ds_write2_b64 v38, v[11:12], v[13:14] offset0:2 offset1:3
	ds_write2_b64 v38, v[7:8], v[9:10] offset0:4 offset1:5
	;; [unrolled: 1-line block ×3, first 2 shown]
	; wave barrier
	ds_read_b64 v[21:22], v39
	ds_read_b64 v[23:24], v40 offset:512
	ds_read_b64 v[25:26], v41 offset:1024
	;; [unrolled: 1-line block ×7, first 2 shown]
	v_mov_b32_e32 v12, 0
	v_mov_b32_e32 v13, 0
	s_waitcnt lgkmcnt(0)
	s_barrier
	; wave barrier
	s_barrier
	s_branch .LBB58_6
.LBB58_5:                               ;   in Loop: Header=BB58_6 Depth=2
	s_andn2_b64 vcc, exec, s[34:35]
	s_cbranch_vccz .LBB58_30
.LBB58_6:                               ;   Parent Loop BB58_2 Depth=1
                                        ; =>  This Inner Loop Header: Depth=2
	v_mov_b32_e32 v16, v21
	v_mov_b32_e32 v14, v23
	;; [unrolled: 1-line block ×4, first 2 shown]
	v_lshrrev_b64 v[22:23], v12, v[16:17]
	v_mov_b32_e32 v10, v25
	v_and_b32_e32 v18, 1, v22
	v_add_co_u32_e32 v21, vcc, -1, v18
	v_addc_co_u32_e64 v24, s[34:35], 0, -1, vcc
	v_cmp_ne_u32_e32 vcc, 0, v18
	v_xor_b32_e32 v21, vcc_lo, v21
	v_xor_b32_e32 v18, vcc_hi, v24
	v_and_b32_e32 v24, exec_lo, v21
	v_lshlrev_b32_e32 v21, 30, v22
	v_cmp_gt_i64_e32 vcc, 0, v[20:21]
	v_not_b32_e32 v21, v21
	v_ashrrev_i32_e32 v21, 31, v21
	v_mov_b32_e32 v11, v26
	v_xor_b32_e32 v25, vcc_hi, v21
	v_xor_b32_e32 v21, vcc_lo, v21
	v_and_b32_e32 v24, v24, v21
	v_lshlrev_b32_e32 v21, 29, v22
	v_cmp_gt_i64_e32 vcc, 0, v[20:21]
	v_not_b32_e32 v21, v21
	v_and_b32_e32 v18, exec_hi, v18
	v_ashrrev_i32_e32 v21, 31, v21
	v_and_b32_e32 v18, v18, v25
	v_xor_b32_e32 v25, vcc_hi, v21
	v_xor_b32_e32 v21, vcc_lo, v21
	v_and_b32_e32 v24, v24, v21
	v_lshlrev_b32_e32 v21, 28, v22
	v_cmp_gt_i64_e32 vcc, 0, v[20:21]
	v_not_b32_e32 v21, v21
	v_ashrrev_i32_e32 v21, 31, v21
	v_and_b32_e32 v18, v18, v25
	v_xor_b32_e32 v25, vcc_hi, v21
	v_xor_b32_e32 v21, vcc_lo, v21
	v_and_b32_e32 v24, v24, v21
	v_lshlrev_b32_e32 v21, 27, v22
	v_cmp_gt_i64_e32 vcc, 0, v[20:21]
	v_not_b32_e32 v21, v21
	;; [unrolled: 8-line block ×5, first 2 shown]
	v_ashrrev_i32_e32 v21, 31, v21
	v_mul_u32_u24_sdwa v23, v22, v65 dst_sel:DWORD dst_unused:UNUSED_PAD src0_sel:BYTE_0 src1_sel:DWORD
	v_xor_b32_e32 v22, vcc_hi, v21
	v_xor_b32_e32 v21, vcc_lo, v21
	v_and_b32_e32 v18, v18, v25
	v_and_b32_e32 v21, v24, v21
	;; [unrolled: 1-line block ×3, first 2 shown]
	v_mbcnt_lo_u32_b32 v18, v21, 0
	v_mbcnt_hi_u32_b32 v18, v22, v18
	v_cmp_ne_u64_e32 vcc, 0, v[21:22]
	v_mov_b32_e32 v8, v27
	v_mov_b32_e32 v6, v29
	v_mov_b32_e32 v4, v31
	v_mov_b32_e32 v2, v33
	v_mov_b32_e32 v0, v35
	v_cmp_eq_u32_e64 s[34:35], 0, v18
	v_mov_b32_e32 v9, v28
	v_mov_b32_e32 v7, v30
	;; [unrolled: 1-line block ×5, first 2 shown]
	s_and_b64 s[36:37], vcc, s[34:35]
	v_add_u32_e32 v25, v63, v23
	ds_write2_b32 v47, v20, v20 offset0:5 offset1:6
	ds_write2_b32 v47, v20, v20 offset0:7 offset1:8
	s_waitcnt lgkmcnt(0)
	s_barrier
	; wave barrier
	s_and_saveexec_b64 s[34:35], s[36:37]
; %bb.7:                                ;   in Loop: Header=BB58_6 Depth=2
	v_bcnt_u32_b32 v21, v21, 0
	v_bcnt_u32_b32 v21, v22, v21
	ds_write_b32 v25, v21 offset:20
; %bb.8:                                ;   in Loop: Header=BB58_6 Depth=2
	s_or_b64 exec, exec, s[34:35]
	v_lshrrev_b64 v[22:23], v12, v[14:15]
	v_and_b32_e32 v21, 0xff, v22
	v_mul_u32_u24_e32 v23, 20, v21
	v_mad_u32_u24 v21, v21, 20, v63
	; wave barrier
	ds_read_b32 v26, v21 offset:20
	v_and_b32_e32 v21, 1, v22
	v_add_co_u32_e32 v24, vcc, -1, v21
	v_addc_co_u32_e64 v27, s[34:35], 0, -1, vcc
	v_cmp_ne_u32_e32 vcc, 0, v21
	v_xor_b32_e32 v21, vcc_hi, v27
	v_and_b32_e32 v27, exec_hi, v21
	v_lshlrev_b32_e32 v21, 30, v22
	v_xor_b32_e32 v24, vcc_lo, v24
	v_cmp_gt_i64_e32 vcc, 0, v[20:21]
	v_not_b32_e32 v21, v21
	v_ashrrev_i32_e32 v21, 31, v21
	v_and_b32_e32 v24, exec_lo, v24
	v_xor_b32_e32 v28, vcc_hi, v21
	v_xor_b32_e32 v21, vcc_lo, v21
	v_and_b32_e32 v24, v24, v21
	v_lshlrev_b32_e32 v21, 29, v22
	v_cmp_gt_i64_e32 vcc, 0, v[20:21]
	v_not_b32_e32 v21, v21
	v_ashrrev_i32_e32 v21, 31, v21
	v_and_b32_e32 v27, v27, v28
	v_xor_b32_e32 v28, vcc_hi, v21
	v_xor_b32_e32 v21, vcc_lo, v21
	v_and_b32_e32 v24, v24, v21
	v_lshlrev_b32_e32 v21, 28, v22
	v_cmp_gt_i64_e32 vcc, 0, v[20:21]
	v_not_b32_e32 v21, v21
	v_ashrrev_i32_e32 v21, 31, v21
	v_and_b32_e32 v27, v27, v28
	;; [unrolled: 8-line block ×5, first 2 shown]
	v_xor_b32_e32 v28, vcc_hi, v21
	v_xor_b32_e32 v21, vcc_lo, v21
	v_and_b32_e32 v24, v24, v21
	v_lshlrev_b32_e32 v21, 24, v22
	v_cmp_gt_i64_e32 vcc, 0, v[20:21]
	v_not_b32_e32 v21, v21
	v_ashrrev_i32_e32 v21, 31, v21
	v_xor_b32_e32 v22, vcc_hi, v21
	v_xor_b32_e32 v21, vcc_lo, v21
	v_and_b32_e32 v27, v27, v28
	v_and_b32_e32 v21, v24, v21
	;; [unrolled: 1-line block ×3, first 2 shown]
	v_mbcnt_lo_u32_b32 v24, v21, 0
	v_mbcnt_hi_u32_b32 v27, v22, v24
	v_cmp_ne_u64_e32 vcc, 0, v[21:22]
	v_cmp_eq_u32_e64 s[34:35], 0, v27
	s_and_b64 s[36:37], vcc, s[34:35]
	v_add_u32_e32 v28, v63, v23
	; wave barrier
	s_and_saveexec_b64 s[34:35], s[36:37]
	s_cbranch_execz .LBB58_10
; %bb.9:                                ;   in Loop: Header=BB58_6 Depth=2
	v_bcnt_u32_b32 v21, v21, 0
	v_bcnt_u32_b32 v21, v22, v21
	s_waitcnt lgkmcnt(0)
	v_add_u32_e32 v21, v26, v21
	ds_write_b32 v28, v21 offset:20
.LBB58_10:                              ;   in Loop: Header=BB58_6 Depth=2
	s_or_b64 exec, exec, s[34:35]
	v_lshrrev_b64 v[22:23], v12, v[10:11]
	v_and_b32_e32 v21, 0xff, v22
	v_mul_u32_u24_e32 v23, 20, v21
	v_mad_u32_u24 v21, v21, 20, v63
	; wave barrier
	ds_read_b32 v29, v21 offset:20
	v_and_b32_e32 v21, 1, v22
	v_add_co_u32_e32 v24, vcc, -1, v21
	v_addc_co_u32_e64 v30, s[34:35], 0, -1, vcc
	v_cmp_ne_u32_e32 vcc, 0, v21
	v_xor_b32_e32 v21, vcc_hi, v30
	v_and_b32_e32 v30, exec_hi, v21
	v_lshlrev_b32_e32 v21, 30, v22
	v_xor_b32_e32 v24, vcc_lo, v24
	v_cmp_gt_i64_e32 vcc, 0, v[20:21]
	v_not_b32_e32 v21, v21
	v_ashrrev_i32_e32 v21, 31, v21
	v_and_b32_e32 v24, exec_lo, v24
	v_xor_b32_e32 v31, vcc_hi, v21
	v_xor_b32_e32 v21, vcc_lo, v21
	v_and_b32_e32 v24, v24, v21
	v_lshlrev_b32_e32 v21, 29, v22
	v_cmp_gt_i64_e32 vcc, 0, v[20:21]
	v_not_b32_e32 v21, v21
	v_ashrrev_i32_e32 v21, 31, v21
	v_and_b32_e32 v30, v30, v31
	v_xor_b32_e32 v31, vcc_hi, v21
	v_xor_b32_e32 v21, vcc_lo, v21
	v_and_b32_e32 v24, v24, v21
	v_lshlrev_b32_e32 v21, 28, v22
	v_cmp_gt_i64_e32 vcc, 0, v[20:21]
	v_not_b32_e32 v21, v21
	v_ashrrev_i32_e32 v21, 31, v21
	v_and_b32_e32 v30, v30, v31
	;; [unrolled: 8-line block ×5, first 2 shown]
	v_xor_b32_e32 v31, vcc_hi, v21
	v_xor_b32_e32 v21, vcc_lo, v21
	v_and_b32_e32 v24, v24, v21
	v_lshlrev_b32_e32 v21, 24, v22
	v_cmp_gt_i64_e32 vcc, 0, v[20:21]
	v_not_b32_e32 v21, v21
	v_ashrrev_i32_e32 v21, 31, v21
	v_xor_b32_e32 v22, vcc_hi, v21
	v_xor_b32_e32 v21, vcc_lo, v21
	v_and_b32_e32 v30, v30, v31
	v_and_b32_e32 v21, v24, v21
	;; [unrolled: 1-line block ×3, first 2 shown]
	v_mbcnt_lo_u32_b32 v24, v21, 0
	v_mbcnt_hi_u32_b32 v30, v22, v24
	v_cmp_ne_u64_e32 vcc, 0, v[21:22]
	v_cmp_eq_u32_e64 s[34:35], 0, v30
	s_and_b64 s[36:37], vcc, s[34:35]
	v_add_u32_e32 v31, v63, v23
	; wave barrier
	s_and_saveexec_b64 s[34:35], s[36:37]
	s_cbranch_execz .LBB58_12
; %bb.11:                               ;   in Loop: Header=BB58_6 Depth=2
	v_bcnt_u32_b32 v21, v21, 0
	v_bcnt_u32_b32 v21, v22, v21
	s_waitcnt lgkmcnt(0)
	v_add_u32_e32 v21, v29, v21
	ds_write_b32 v31, v21 offset:20
.LBB58_12:                              ;   in Loop: Header=BB58_6 Depth=2
	s_or_b64 exec, exec, s[34:35]
	v_lshrrev_b64 v[22:23], v12, v[8:9]
	v_and_b32_e32 v21, 0xff, v22
	v_mul_u32_u24_e32 v23, 20, v21
	v_mad_u32_u24 v21, v21, 20, v63
	; wave barrier
	ds_read_b32 v32, v21 offset:20
	v_and_b32_e32 v21, 1, v22
	v_add_co_u32_e32 v24, vcc, -1, v21
	v_addc_co_u32_e64 v33, s[34:35], 0, -1, vcc
	v_cmp_ne_u32_e32 vcc, 0, v21
	v_xor_b32_e32 v21, vcc_hi, v33
	v_and_b32_e32 v33, exec_hi, v21
	v_lshlrev_b32_e32 v21, 30, v22
	v_xor_b32_e32 v24, vcc_lo, v24
	v_cmp_gt_i64_e32 vcc, 0, v[20:21]
	v_not_b32_e32 v21, v21
	v_ashrrev_i32_e32 v21, 31, v21
	v_and_b32_e32 v24, exec_lo, v24
	v_xor_b32_e32 v34, vcc_hi, v21
	v_xor_b32_e32 v21, vcc_lo, v21
	v_and_b32_e32 v24, v24, v21
	v_lshlrev_b32_e32 v21, 29, v22
	v_cmp_gt_i64_e32 vcc, 0, v[20:21]
	v_not_b32_e32 v21, v21
	v_ashrrev_i32_e32 v21, 31, v21
	v_and_b32_e32 v33, v33, v34
	v_xor_b32_e32 v34, vcc_hi, v21
	v_xor_b32_e32 v21, vcc_lo, v21
	v_and_b32_e32 v24, v24, v21
	v_lshlrev_b32_e32 v21, 28, v22
	v_cmp_gt_i64_e32 vcc, 0, v[20:21]
	v_not_b32_e32 v21, v21
	v_ashrrev_i32_e32 v21, 31, v21
	v_and_b32_e32 v33, v33, v34
	;; [unrolled: 8-line block ×5, first 2 shown]
	v_xor_b32_e32 v34, vcc_hi, v21
	v_xor_b32_e32 v21, vcc_lo, v21
	v_and_b32_e32 v24, v24, v21
	v_lshlrev_b32_e32 v21, 24, v22
	v_cmp_gt_i64_e32 vcc, 0, v[20:21]
	v_not_b32_e32 v21, v21
	v_ashrrev_i32_e32 v21, 31, v21
	v_xor_b32_e32 v22, vcc_hi, v21
	v_xor_b32_e32 v21, vcc_lo, v21
	v_and_b32_e32 v33, v33, v34
	v_and_b32_e32 v21, v24, v21
	;; [unrolled: 1-line block ×3, first 2 shown]
	v_mbcnt_lo_u32_b32 v24, v21, 0
	v_mbcnt_hi_u32_b32 v33, v22, v24
	v_cmp_ne_u64_e32 vcc, 0, v[21:22]
	v_cmp_eq_u32_e64 s[34:35], 0, v33
	s_and_b64 s[36:37], vcc, s[34:35]
	v_add_u32_e32 v34, v63, v23
	; wave barrier
	s_and_saveexec_b64 s[34:35], s[36:37]
	s_cbranch_execz .LBB58_14
; %bb.13:                               ;   in Loop: Header=BB58_6 Depth=2
	v_bcnt_u32_b32 v21, v21, 0
	v_bcnt_u32_b32 v21, v22, v21
	s_waitcnt lgkmcnt(0)
	v_add_u32_e32 v21, v32, v21
	ds_write_b32 v34, v21 offset:20
.LBB58_14:                              ;   in Loop: Header=BB58_6 Depth=2
	s_or_b64 exec, exec, s[34:35]
	v_lshrrev_b64 v[22:23], v12, v[6:7]
	v_and_b32_e32 v21, 0xff, v22
	v_mul_u32_u24_e32 v23, 20, v21
	v_mad_u32_u24 v21, v21, 20, v63
	; wave barrier
	ds_read_b32 v35, v21 offset:20
	v_and_b32_e32 v21, 1, v22
	v_add_co_u32_e32 v24, vcc, -1, v21
	v_addc_co_u32_e64 v36, s[34:35], 0, -1, vcc
	v_cmp_ne_u32_e32 vcc, 0, v21
	v_xor_b32_e32 v21, vcc_hi, v36
	v_and_b32_e32 v36, exec_hi, v21
	v_lshlrev_b32_e32 v21, 30, v22
	v_xor_b32_e32 v24, vcc_lo, v24
	v_cmp_gt_i64_e32 vcc, 0, v[20:21]
	v_not_b32_e32 v21, v21
	v_ashrrev_i32_e32 v21, 31, v21
	v_and_b32_e32 v24, exec_lo, v24
	v_xor_b32_e32 v67, vcc_hi, v21
	v_xor_b32_e32 v21, vcc_lo, v21
	v_and_b32_e32 v24, v24, v21
	v_lshlrev_b32_e32 v21, 29, v22
	v_cmp_gt_i64_e32 vcc, 0, v[20:21]
	v_not_b32_e32 v21, v21
	v_ashrrev_i32_e32 v21, 31, v21
	v_and_b32_e32 v36, v36, v67
	v_xor_b32_e32 v67, vcc_hi, v21
	v_xor_b32_e32 v21, vcc_lo, v21
	v_and_b32_e32 v24, v24, v21
	v_lshlrev_b32_e32 v21, 28, v22
	v_cmp_gt_i64_e32 vcc, 0, v[20:21]
	v_not_b32_e32 v21, v21
	v_ashrrev_i32_e32 v21, 31, v21
	v_and_b32_e32 v36, v36, v67
	;; [unrolled: 8-line block ×5, first 2 shown]
	v_xor_b32_e32 v67, vcc_hi, v21
	v_xor_b32_e32 v21, vcc_lo, v21
	v_and_b32_e32 v24, v24, v21
	v_lshlrev_b32_e32 v21, 24, v22
	v_cmp_gt_i64_e32 vcc, 0, v[20:21]
	v_not_b32_e32 v21, v21
	v_ashrrev_i32_e32 v21, 31, v21
	v_xor_b32_e32 v22, vcc_hi, v21
	v_xor_b32_e32 v21, vcc_lo, v21
	v_and_b32_e32 v36, v36, v67
	v_and_b32_e32 v21, v24, v21
	;; [unrolled: 1-line block ×3, first 2 shown]
	v_mbcnt_lo_u32_b32 v24, v21, 0
	v_mbcnt_hi_u32_b32 v36, v22, v24
	v_cmp_ne_u64_e32 vcc, 0, v[21:22]
	v_cmp_eq_u32_e64 s[34:35], 0, v36
	s_and_b64 s[36:37], vcc, s[34:35]
	v_add_u32_e32 v67, v63, v23
	; wave barrier
	s_and_saveexec_b64 s[34:35], s[36:37]
	s_cbranch_execz .LBB58_16
; %bb.15:                               ;   in Loop: Header=BB58_6 Depth=2
	v_bcnt_u32_b32 v21, v21, 0
	v_bcnt_u32_b32 v21, v22, v21
	s_waitcnt lgkmcnt(0)
	v_add_u32_e32 v21, v35, v21
	ds_write_b32 v67, v21 offset:20
.LBB58_16:                              ;   in Loop: Header=BB58_6 Depth=2
	s_or_b64 exec, exec, s[34:35]
	v_lshrrev_b64 v[22:23], v12, v[4:5]
	v_and_b32_e32 v21, 0xff, v22
	v_mul_u32_u24_e32 v23, 20, v21
	v_mad_u32_u24 v21, v21, 20, v63
	; wave barrier
	ds_read_b32 v68, v21 offset:20
	v_and_b32_e32 v21, 1, v22
	v_add_co_u32_e32 v24, vcc, -1, v21
	v_addc_co_u32_e64 v69, s[34:35], 0, -1, vcc
	v_cmp_ne_u32_e32 vcc, 0, v21
	v_xor_b32_e32 v21, vcc_hi, v69
	v_and_b32_e32 v69, exec_hi, v21
	v_lshlrev_b32_e32 v21, 30, v22
	v_xor_b32_e32 v24, vcc_lo, v24
	v_cmp_gt_i64_e32 vcc, 0, v[20:21]
	v_not_b32_e32 v21, v21
	v_ashrrev_i32_e32 v21, 31, v21
	v_and_b32_e32 v24, exec_lo, v24
	v_xor_b32_e32 v70, vcc_hi, v21
	v_xor_b32_e32 v21, vcc_lo, v21
	v_and_b32_e32 v24, v24, v21
	v_lshlrev_b32_e32 v21, 29, v22
	v_cmp_gt_i64_e32 vcc, 0, v[20:21]
	v_not_b32_e32 v21, v21
	v_ashrrev_i32_e32 v21, 31, v21
	v_and_b32_e32 v69, v69, v70
	v_xor_b32_e32 v70, vcc_hi, v21
	v_xor_b32_e32 v21, vcc_lo, v21
	v_and_b32_e32 v24, v24, v21
	v_lshlrev_b32_e32 v21, 28, v22
	v_cmp_gt_i64_e32 vcc, 0, v[20:21]
	v_not_b32_e32 v21, v21
	v_ashrrev_i32_e32 v21, 31, v21
	v_and_b32_e32 v69, v69, v70
	;; [unrolled: 8-line block ×5, first 2 shown]
	v_xor_b32_e32 v70, vcc_hi, v21
	v_xor_b32_e32 v21, vcc_lo, v21
	v_and_b32_e32 v24, v24, v21
	v_lshlrev_b32_e32 v21, 24, v22
	v_cmp_gt_i64_e32 vcc, 0, v[20:21]
	v_not_b32_e32 v21, v21
	v_ashrrev_i32_e32 v21, 31, v21
	v_xor_b32_e32 v22, vcc_hi, v21
	v_xor_b32_e32 v21, vcc_lo, v21
	v_and_b32_e32 v69, v69, v70
	v_and_b32_e32 v21, v24, v21
	;; [unrolled: 1-line block ×3, first 2 shown]
	v_mbcnt_lo_u32_b32 v24, v21, 0
	v_mbcnt_hi_u32_b32 v69, v22, v24
	v_cmp_ne_u64_e32 vcc, 0, v[21:22]
	v_cmp_eq_u32_e64 s[34:35], 0, v69
	s_and_b64 s[36:37], vcc, s[34:35]
	v_add_u32_e32 v70, v63, v23
	; wave barrier
	s_and_saveexec_b64 s[34:35], s[36:37]
	s_cbranch_execz .LBB58_18
; %bb.17:                               ;   in Loop: Header=BB58_6 Depth=2
	v_bcnt_u32_b32 v21, v21, 0
	v_bcnt_u32_b32 v21, v22, v21
	s_waitcnt lgkmcnt(0)
	v_add_u32_e32 v21, v68, v21
	ds_write_b32 v70, v21 offset:20
.LBB58_18:                              ;   in Loop: Header=BB58_6 Depth=2
	s_or_b64 exec, exec, s[34:35]
	v_lshrrev_b64 v[22:23], v12, v[2:3]
	v_and_b32_e32 v21, 0xff, v22
	v_mul_u32_u24_e32 v23, 20, v21
	v_mad_u32_u24 v21, v21, 20, v63
	; wave barrier
	ds_read_b32 v71, v21 offset:20
	v_and_b32_e32 v21, 1, v22
	v_add_co_u32_e32 v24, vcc, -1, v21
	v_addc_co_u32_e64 v72, s[34:35], 0, -1, vcc
	v_cmp_ne_u32_e32 vcc, 0, v21
	v_xor_b32_e32 v21, vcc_hi, v72
	v_and_b32_e32 v72, exec_hi, v21
	v_lshlrev_b32_e32 v21, 30, v22
	v_xor_b32_e32 v24, vcc_lo, v24
	v_cmp_gt_i64_e32 vcc, 0, v[20:21]
	v_not_b32_e32 v21, v21
	v_ashrrev_i32_e32 v21, 31, v21
	v_and_b32_e32 v24, exec_lo, v24
	v_xor_b32_e32 v73, vcc_hi, v21
	v_xor_b32_e32 v21, vcc_lo, v21
	v_and_b32_e32 v24, v24, v21
	v_lshlrev_b32_e32 v21, 29, v22
	v_cmp_gt_i64_e32 vcc, 0, v[20:21]
	v_not_b32_e32 v21, v21
	v_ashrrev_i32_e32 v21, 31, v21
	v_and_b32_e32 v72, v72, v73
	v_xor_b32_e32 v73, vcc_hi, v21
	v_xor_b32_e32 v21, vcc_lo, v21
	v_and_b32_e32 v24, v24, v21
	v_lshlrev_b32_e32 v21, 28, v22
	v_cmp_gt_i64_e32 vcc, 0, v[20:21]
	v_not_b32_e32 v21, v21
	v_ashrrev_i32_e32 v21, 31, v21
	v_and_b32_e32 v72, v72, v73
	;; [unrolled: 8-line block ×5, first 2 shown]
	v_xor_b32_e32 v73, vcc_hi, v21
	v_xor_b32_e32 v21, vcc_lo, v21
	v_and_b32_e32 v24, v24, v21
	v_lshlrev_b32_e32 v21, 24, v22
	v_cmp_gt_i64_e32 vcc, 0, v[20:21]
	v_not_b32_e32 v21, v21
	v_ashrrev_i32_e32 v21, 31, v21
	v_xor_b32_e32 v22, vcc_hi, v21
	v_xor_b32_e32 v21, vcc_lo, v21
	v_and_b32_e32 v72, v72, v73
	v_and_b32_e32 v21, v24, v21
	;; [unrolled: 1-line block ×3, first 2 shown]
	v_mbcnt_lo_u32_b32 v24, v21, 0
	v_mbcnt_hi_u32_b32 v72, v22, v24
	v_cmp_ne_u64_e32 vcc, 0, v[21:22]
	v_cmp_eq_u32_e64 s[34:35], 0, v72
	s_and_b64 s[36:37], vcc, s[34:35]
	v_add_u32_e32 v73, v63, v23
	; wave barrier
	s_and_saveexec_b64 s[34:35], s[36:37]
	s_cbranch_execz .LBB58_20
; %bb.19:                               ;   in Loop: Header=BB58_6 Depth=2
	v_bcnt_u32_b32 v21, v21, 0
	v_bcnt_u32_b32 v21, v22, v21
	s_waitcnt lgkmcnt(0)
	v_add_u32_e32 v21, v71, v21
	ds_write_b32 v73, v21 offset:20
.LBB58_20:                              ;   in Loop: Header=BB58_6 Depth=2
	s_or_b64 exec, exec, s[34:35]
	v_lshrrev_b64 v[22:23], v12, v[0:1]
	v_and_b32_e32 v21, 0xff, v22
	v_mul_u32_u24_e32 v23, 20, v21
	v_mad_u32_u24 v21, v21, 20, v63
	; wave barrier
	ds_read_b32 v74, v21 offset:20
	v_and_b32_e32 v21, 1, v22
	v_add_co_u32_e32 v24, vcc, -1, v21
	v_addc_co_u32_e64 v75, s[34:35], 0, -1, vcc
	v_cmp_ne_u32_e32 vcc, 0, v21
	v_xor_b32_e32 v21, vcc_hi, v75
	v_and_b32_e32 v75, exec_hi, v21
	v_lshlrev_b32_e32 v21, 30, v22
	v_xor_b32_e32 v24, vcc_lo, v24
	v_cmp_gt_i64_e32 vcc, 0, v[20:21]
	v_not_b32_e32 v21, v21
	v_ashrrev_i32_e32 v21, 31, v21
	v_and_b32_e32 v24, exec_lo, v24
	v_xor_b32_e32 v76, vcc_hi, v21
	v_xor_b32_e32 v21, vcc_lo, v21
	v_and_b32_e32 v24, v24, v21
	v_lshlrev_b32_e32 v21, 29, v22
	v_cmp_gt_i64_e32 vcc, 0, v[20:21]
	v_not_b32_e32 v21, v21
	v_ashrrev_i32_e32 v21, 31, v21
	v_and_b32_e32 v75, v75, v76
	v_xor_b32_e32 v76, vcc_hi, v21
	v_xor_b32_e32 v21, vcc_lo, v21
	v_and_b32_e32 v24, v24, v21
	v_lshlrev_b32_e32 v21, 28, v22
	v_cmp_gt_i64_e32 vcc, 0, v[20:21]
	v_not_b32_e32 v21, v21
	v_ashrrev_i32_e32 v21, 31, v21
	v_and_b32_e32 v75, v75, v76
	;; [unrolled: 8-line block ×5, first 2 shown]
	v_xor_b32_e32 v76, vcc_hi, v21
	v_xor_b32_e32 v21, vcc_lo, v21
	v_and_b32_e32 v24, v24, v21
	v_lshlrev_b32_e32 v21, 24, v22
	v_cmp_gt_i64_e32 vcc, 0, v[20:21]
	v_not_b32_e32 v21, v21
	v_ashrrev_i32_e32 v21, 31, v21
	v_xor_b32_e32 v22, vcc_hi, v21
	v_xor_b32_e32 v21, vcc_lo, v21
	v_and_b32_e32 v75, v75, v76
	v_and_b32_e32 v21, v24, v21
	;; [unrolled: 1-line block ×3, first 2 shown]
	v_mbcnt_lo_u32_b32 v24, v21, 0
	v_mbcnt_hi_u32_b32 v78, v22, v24
	v_cmp_ne_u64_e32 vcc, 0, v[21:22]
	v_cmp_eq_u32_e64 s[34:35], 0, v78
	s_and_b64 s[36:37], vcc, s[34:35]
	v_add_u32_e32 v79, v63, v23
	; wave barrier
	s_and_saveexec_b64 s[34:35], s[36:37]
	s_cbranch_execz .LBB58_22
; %bb.21:                               ;   in Loop: Header=BB58_6 Depth=2
	v_bcnt_u32_b32 v21, v21, 0
	v_bcnt_u32_b32 v21, v22, v21
	s_waitcnt lgkmcnt(0)
	v_add_u32_e32 v21, v74, v21
	ds_write_b32 v79, v21 offset:20
.LBB58_22:                              ;   in Loop: Header=BB58_6 Depth=2
	s_or_b64 exec, exec, s[34:35]
	; wave barrier
	s_waitcnt lgkmcnt(0)
	s_barrier
	ds_read2_b32 v[23:24], v47 offset0:5 offset1:6
	ds_read2_b32 v[21:22], v47 offset0:7 offset1:8
	s_waitcnt lgkmcnt(1)
	v_add_u32_e32 v75, v24, v23
	s_waitcnt lgkmcnt(0)
	v_add3_u32 v22, v75, v21, v22
	s_nop 1
	v_mov_b32_dpp v75, v22 row_shr:1 row_mask:0xf bank_mask:0xf
	v_cndmask_b32_e64 v75, v75, 0, s[2:3]
	v_add_u32_e32 v22, v75, v22
	s_nop 1
	v_mov_b32_dpp v75, v22 row_shr:2 row_mask:0xf bank_mask:0xf
	v_cndmask_b32_e64 v75, 0, v75, s[4:5]
	v_add_u32_e32 v22, v22, v75
	s_nop 1
	v_mov_b32_dpp v75, v22 row_shr:4 row_mask:0xf bank_mask:0xf
	v_cndmask_b32_e64 v75, 0, v75, s[6:7]
	v_add_u32_e32 v22, v22, v75
	s_nop 1
	v_mov_b32_dpp v75, v22 row_shr:8 row_mask:0xf bank_mask:0xf
	v_cndmask_b32_e64 v75, 0, v75, s[8:9]
	v_add_u32_e32 v22, v22, v75
	s_nop 1
	v_mov_b32_dpp v75, v22 row_bcast:15 row_mask:0xf bank_mask:0xf
	v_cndmask_b32_e64 v75, v75, 0, s[10:11]
	v_add_u32_e32 v22, v22, v75
	s_nop 1
	v_mov_b32_dpp v75, v22 row_bcast:31 row_mask:0xf bank_mask:0xf
	v_cndmask_b32_e64 v75, 0, v75, s[12:13]
	v_add_u32_e32 v22, v22, v75
	s_and_saveexec_b64 s[34:35], s[14:15]
; %bb.23:                               ;   in Loop: Header=BB58_6 Depth=2
	ds_write_b32 v50, v22
; %bb.24:                               ;   in Loop: Header=BB58_6 Depth=2
	s_or_b64 exec, exec, s[34:35]
	s_waitcnt lgkmcnt(0)
	s_barrier
	s_and_saveexec_b64 s[34:35], s[16:17]
	s_cbranch_execz .LBB58_26
; %bb.25:                               ;   in Loop: Header=BB58_6 Depth=2
	ds_read_b32 v75, v51
	s_waitcnt lgkmcnt(0)
	s_nop 0
	v_mov_b32_dpp v76, v75 row_shr:1 row_mask:0xf bank_mask:0xf
	v_cndmask_b32_e64 v76, v76, 0, s[26:27]
	v_add_u32_e32 v75, v76, v75
	s_nop 1
	v_mov_b32_dpp v76, v75 row_shr:2 row_mask:0xf bank_mask:0xf
	v_cndmask_b32_e64 v76, 0, v76, s[28:29]
	v_add_u32_e32 v75, v75, v76
	;; [unrolled: 4-line block ×3, first 2 shown]
	ds_write_b32 v51, v75
.LBB58_26:                              ;   in Loop: Header=BB58_6 Depth=2
	s_or_b64 exec, exec, s[34:35]
	v_mov_b32_e32 v75, 0
	s_waitcnt lgkmcnt(0)
	s_barrier
	s_and_saveexec_b64 s[34:35], s[18:19]
; %bb.27:                               ;   in Loop: Header=BB58_6 Depth=2
	ds_read_b32 v75, v52
; %bb.28:                               ;   in Loop: Header=BB58_6 Depth=2
	s_or_b64 exec, exec, s[34:35]
	s_waitcnt lgkmcnt(0)
	v_add_u32_e32 v22, v75, v22
	ds_bpermute_b32 v22, v49, v22
	v_cmp_lt_u32_e32 vcc, 55, v12
	s_and_b64 vcc, exec, vcc
	s_mov_b64 s[34:35], -1
	s_waitcnt lgkmcnt(0)
	v_cndmask_b32_e64 v22, v22, v75, s[20:21]
	v_cndmask_b32_e64 v22, v22, 0, s[22:23]
	v_add_u32_e32 v23, v22, v23
	v_add_u32_e32 v24, v23, v24
	;; [unrolled: 1-line block ×3, first 2 shown]
	ds_write2_b32 v47, v22, v23 offset0:5 offset1:6
	ds_write2_b32 v47, v24, v21 offset0:7 offset1:8
	s_waitcnt lgkmcnt(0)
	s_barrier
	ds_read_b32 v21, v25 offset:20
	ds_read_b32 v22, v28 offset:20
	;; [unrolled: 1-line block ×3, first 2 shown]
	s_waitcnt lgkmcnt(2)
	v_add_u32_e32 v77, v21, v18
	s_waitcnt lgkmcnt(1)
	v_add3_u32 v76, v27, v26, v22
	ds_read_b32 v18, v34 offset:20
	s_waitcnt lgkmcnt(1)
	v_add3_u32 v75, v30, v29, v23
	ds_read_b32 v21, v67 offset:20
	ds_read_b32 v22, v70 offset:20
	;; [unrolled: 1-line block ×4, first 2 shown]
                                        ; implicit-def: $vgpr25_vgpr26
                                        ; implicit-def: $vgpr27_vgpr28
                                        ; implicit-def: $vgpr29_vgpr30
	s_waitcnt lgkmcnt(3)
	v_add3_u32 v70, v36, v35, v21
	v_add3_u32 v73, v33, v32, v18
	s_waitcnt lgkmcnt(2)
	v_add3_u32 v68, v69, v68, v22
	s_waitcnt lgkmcnt(1)
	;; [unrolled: 2-line block ×3, first 2 shown]
	v_add3_u32 v18, v78, v74, v24
                                        ; implicit-def: $vgpr21_vgpr22
                                        ; implicit-def: $vgpr23_vgpr24
                                        ; implicit-def: $vgpr31_vgpr32
                                        ; implicit-def: $vgpr33_vgpr34
                                        ; implicit-def: $vgpr35_vgpr36
	s_cbranch_vccnz .LBB58_5
; %bb.29:                               ;   in Loop: Header=BB58_6 Depth=2
	v_lshrrev_b32_e32 v21, 2, v77
	v_and_b32_e32 v21, 0x3ffffff8, v21
	v_lshl_add_u32 v21, v77, 3, v21
	s_barrier
	ds_write_b64 v21, v[16:17]
	v_lshrrev_b32_e32 v21, 2, v76
	v_and_b32_e32 v21, 0x3ffffff8, v21
	v_lshl_add_u32 v21, v76, 3, v21
	ds_write_b64 v21, v[14:15]
	v_lshrrev_b32_e32 v21, 2, v75
	v_and_b32_e32 v21, 0x3ffffff8, v21
	v_lshl_add_u32 v21, v75, 3, v21
	;; [unrolled: 4-line block ×7, first 2 shown]
	ds_write_b64 v21, v[0:1]
	s_waitcnt lgkmcnt(0)
	s_barrier
	ds_read_b64 v[21:22], v39
	ds_read_b64 v[23:24], v40 offset:512
	ds_read_b64 v[25:26], v41 offset:1024
	;; [unrolled: 1-line block ×7, first 2 shown]
	v_add_co_u32_e32 v12, vcc, 8, v12
	v_addc_co_u32_e32 v13, vcc, 0, v13, vcc
	s_mov_b64 s[34:35], 0
	s_waitcnt lgkmcnt(0)
	s_barrier
	s_branch .LBB58_5
.LBB58_30:                              ;   in Loop: Header=BB58_2 Depth=1
	v_lshrrev_b32_e32 v12, 2, v77
	v_and_b32_e32 v12, 0x3ffffff8, v12
	v_lshl_add_u32 v12, v77, 3, v12
	s_barrier
	ds_write_b64 v12, v[16:17]
	v_lshrrev_b32_e32 v12, 2, v76
	v_and_b32_e32 v12, 0x3ffffff8, v12
	v_lshl_add_u32 v12, v76, 3, v12
	ds_write_b64 v12, v[14:15]
	v_lshrrev_b32_e32 v12, 2, v75
	v_and_b32_e32 v12, 0x3ffffff8, v12
	v_lshl_add_u32 v12, v75, 3, v12
	;; [unrolled: 4-line block ×7, first 2 shown]
	ds_write_b64 v2, v[0:1]
	s_waitcnt lgkmcnt(0)
	s_barrier
	ds_read2_b64 v[15:18], v53 offset1:1
	ds_read2_b64 v[11:14], v53 offset0:2 offset1:3
	ds_read2_b64 v[7:10], v53 offset0:4 offset1:5
	;; [unrolled: 1-line block ×3, first 2 shown]
	s_waitcnt lgkmcnt(0)
	s_barrier
	s_and_saveexec_b64 s[34:35], s[0:1]
; %bb.31:                               ;   in Loop: Header=BB58_2 Depth=1
	ds_write2st64_b32 v66, v64, v64 offset0:20 offset1:25
; %bb.32:                               ;   in Loop: Header=BB58_2 Depth=1
	s_or_b64 exec, exec, s[34:35]
	v_cmp_ne_u32_e32 vcc, v3, v5
	v_lshlrev_b32_e32 v1, 2, v3
	s_waitcnt lgkmcnt(0)
	s_barrier
	ds_write_b64 v54, v[5:6]
	s_and_saveexec_b64 s[34:35], vcc
	s_cbranch_execz .LBB58_34
; %bb.33:                               ;   in Loop: Header=BB58_2 Depth=1
	v_lshlrev_b32_e32 v0, 2, v5
	ds_write_b32 v0, v55 offset:5120
	ds_write_b32 v1, v55 offset:6400
.LBB58_34:                              ;   in Loop: Header=BB58_2 Depth=1
	s_or_b64 exec, exec, s[34:35]
	v_cmp_ne_u32_e32 vcc, v3, v9
	v_lshlrev_b32_e32 v2, 2, v9
	v_mov_b32_e32 v0, v3
	s_and_saveexec_b64 s[34:35], vcc
	s_cbranch_execz .LBB58_36
; %bb.35:                               ;   in Loop: Header=BB58_2 Depth=1
	v_mov_b32_e32 v0, v9
	ds_write_b32 v1, v56 offset:5120
	ds_write_b32 v2, v56 offset:6400
.LBB58_36:                              ;   in Loop: Header=BB58_2 Depth=1
	s_or_b64 exec, exec, s[34:35]
	v_cmp_ne_u32_e32 vcc, v0, v7
	v_lshlrev_b32_e32 v1, 2, v7
	s_and_saveexec_b64 s[34:35], vcc
	s_cbranch_execz .LBB58_38
; %bb.37:                               ;   in Loop: Header=BB58_2 Depth=1
	v_mov_b32_e32 v0, v7
	ds_write_b32 v2, v57 offset:5120
	ds_write_b32 v1, v57 offset:6400
.LBB58_38:                              ;   in Loop: Header=BB58_2 Depth=1
	s_or_b64 exec, exec, s[34:35]
	v_cmp_ne_u32_e32 vcc, v0, v13
	v_lshlrev_b32_e32 v2, 2, v13
	;; [unrolled: 10-line block ×5, first 2 shown]
	s_and_saveexec_b64 s[34:35], vcc
	s_cbranch_execz .LBB58_46
; %bb.45:                               ;   in Loop: Header=BB58_2 Depth=1
	ds_write_b32 v2, v61 offset:5120
	ds_write_b32 v0, v61 offset:6400
.LBB58_46:                              ;   in Loop: Header=BB58_2 Depth=1
	s_or_b64 exec, exec, s[34:35]
	s_waitcnt lgkmcnt(0)
	s_barrier
	s_and_saveexec_b64 s[34:35], s[24:25]
	s_cbranch_execz .LBB58_49
; %bb.47:                               ;   in Loop: Header=BB58_2 Depth=1
	ds_read_b32 v1, v62
	s_waitcnt lgkmcnt(0)
	v_cmp_ne_u32_e32 vcc, v1, v15
	s_and_b64 exec, exec, vcc
	s_cbranch_execz .LBB58_49
; %bb.48:                               ;   in Loop: Header=BB58_2 Depth=1
	ds_write_b32 v0, v37 offset:5120
	ds_read_b32 v1, v62
	s_waitcnt lgkmcnt(0)
	v_lshlrev_b32_e32 v1, 2, v1
	ds_write_b32 v1, v37 offset:6400
.LBB58_49:                              ;   in Loop: Header=BB58_2 Depth=1
	s_or_b64 exec, exec, s[34:35]
	s_waitcnt lgkmcnt(0)
	s_barrier
	s_and_saveexec_b64 s[34:35], s[22:23]
; %bb.50:                               ;   in Loop: Header=BB58_2 Depth=1
	ds_write_b32 v0, v20 offset:5120
; %bb.51:                               ;   in Loop: Header=BB58_2 Depth=1
	s_or_b64 exec, exec, s[34:35]
	s_waitcnt lgkmcnt(0)
	s_barrier
	s_and_saveexec_b64 s[34:35], s[0:1]
	s_cbranch_execz .LBB58_1
; %bb.52:                               ;   in Loop: Header=BB58_2 Depth=1
	ds_read2st64_b32 v[0:1], v66 offset0:20 offset1:25
	ds_read_b64 v[21:22], v48
	s_waitcnt lgkmcnt(1)
	v_sub_u32_e32 v0, v1, v0
	s_waitcnt lgkmcnt(0)
	v_add_co_u32_e32 v0, vcc, v21, v0
	v_addc_co_u32_e32 v1, vcc, 0, v22, vcc
	ds_write_b64 v48, v[0:1]
	s_branch .LBB58_1
.LBB58_53:
	s_and_saveexec_b64 s[2:3], s[0:1]
	s_cbranch_execz .LBB58_55
; %bb.54:
	v_mov_b32_e32 v20, 0
	ds_read_b64 v[2:3], v48
	v_lshlrev_b64 v[0:1], 3, v[19:20]
	v_mov_b32_e32 v4, s39
	v_add_co_u32_e32 v0, vcc, s38, v0
	v_addc_co_u32_e32 v1, vcc, v4, v1, vcc
	s_waitcnt lgkmcnt(0)
	global_store_dwordx2 v[0:1], v[2:3], off
.LBB58_55:
	s_endpgm
	.section	.rodata,"a",@progbits
	.p2align	6, 0x0
	.amdhsa_kernel _Z6kernelI9histogramILN6hipcub23BlockHistogramAlgorithmE1EEyLj320ELj8ELj320ELj100EEvPKT0_PS4_
		.amdhsa_group_segment_fixed_size 23680
		.amdhsa_private_segment_fixed_size 0
		.amdhsa_kernarg_size 272
		.amdhsa_user_sgpr_count 6
		.amdhsa_user_sgpr_private_segment_buffer 1
		.amdhsa_user_sgpr_dispatch_ptr 0
		.amdhsa_user_sgpr_queue_ptr 0
		.amdhsa_user_sgpr_kernarg_segment_ptr 1
		.amdhsa_user_sgpr_dispatch_id 0
		.amdhsa_user_sgpr_flat_scratch_init 0
		.amdhsa_user_sgpr_private_segment_size 0
		.amdhsa_uses_dynamic_stack 0
		.amdhsa_system_sgpr_private_segment_wavefront_offset 0
		.amdhsa_system_sgpr_workgroup_id_x 1
		.amdhsa_system_sgpr_workgroup_id_y 0
		.amdhsa_system_sgpr_workgroup_id_z 0
		.amdhsa_system_sgpr_workgroup_info 0
		.amdhsa_system_vgpr_workitem_id 2
		.amdhsa_next_free_vgpr 80
		.amdhsa_next_free_sgpr 98
		.amdhsa_reserve_vcc 1
		.amdhsa_reserve_flat_scratch 0
		.amdhsa_float_round_mode_32 0
		.amdhsa_float_round_mode_16_64 0
		.amdhsa_float_denorm_mode_32 3
		.amdhsa_float_denorm_mode_16_64 3
		.amdhsa_dx10_clamp 1
		.amdhsa_ieee_mode 1
		.amdhsa_fp16_overflow 0
		.amdhsa_exception_fp_ieee_invalid_op 0
		.amdhsa_exception_fp_denorm_src 0
		.amdhsa_exception_fp_ieee_div_zero 0
		.amdhsa_exception_fp_ieee_overflow 0
		.amdhsa_exception_fp_ieee_underflow 0
		.amdhsa_exception_fp_ieee_inexact 0
		.amdhsa_exception_int_div_zero 0
	.end_amdhsa_kernel
	.section	.text._Z6kernelI9histogramILN6hipcub23BlockHistogramAlgorithmE1EEyLj320ELj8ELj320ELj100EEvPKT0_PS4_,"axG",@progbits,_Z6kernelI9histogramILN6hipcub23BlockHistogramAlgorithmE1EEyLj320ELj8ELj320ELj100EEvPKT0_PS4_,comdat
.Lfunc_end58:
	.size	_Z6kernelI9histogramILN6hipcub23BlockHistogramAlgorithmE1EEyLj320ELj8ELj320ELj100EEvPKT0_PS4_, .Lfunc_end58-_Z6kernelI9histogramILN6hipcub23BlockHistogramAlgorithmE1EEyLj320ELj8ELj320ELj100EEvPKT0_PS4_
                                        ; -- End function
	.set _Z6kernelI9histogramILN6hipcub23BlockHistogramAlgorithmE1EEyLj320ELj8ELj320ELj100EEvPKT0_PS4_.num_vgpr, 80
	.set _Z6kernelI9histogramILN6hipcub23BlockHistogramAlgorithmE1EEyLj320ELj8ELj320ELj100EEvPKT0_PS4_.num_agpr, 0
	.set _Z6kernelI9histogramILN6hipcub23BlockHistogramAlgorithmE1EEyLj320ELj8ELj320ELj100EEvPKT0_PS4_.numbered_sgpr, 40
	.set _Z6kernelI9histogramILN6hipcub23BlockHistogramAlgorithmE1EEyLj320ELj8ELj320ELj100EEvPKT0_PS4_.num_named_barrier, 0
	.set _Z6kernelI9histogramILN6hipcub23BlockHistogramAlgorithmE1EEyLj320ELj8ELj320ELj100EEvPKT0_PS4_.private_seg_size, 0
	.set _Z6kernelI9histogramILN6hipcub23BlockHistogramAlgorithmE1EEyLj320ELj8ELj320ELj100EEvPKT0_PS4_.uses_vcc, 1
	.set _Z6kernelI9histogramILN6hipcub23BlockHistogramAlgorithmE1EEyLj320ELj8ELj320ELj100EEvPKT0_PS4_.uses_flat_scratch, 0
	.set _Z6kernelI9histogramILN6hipcub23BlockHistogramAlgorithmE1EEyLj320ELj8ELj320ELj100EEvPKT0_PS4_.has_dyn_sized_stack, 0
	.set _Z6kernelI9histogramILN6hipcub23BlockHistogramAlgorithmE1EEyLj320ELj8ELj320ELj100EEvPKT0_PS4_.has_recursion, 0
	.set _Z6kernelI9histogramILN6hipcub23BlockHistogramAlgorithmE1EEyLj320ELj8ELj320ELj100EEvPKT0_PS4_.has_indirect_call, 0
	.section	.AMDGPU.csdata,"",@progbits
; Kernel info:
; codeLenInByte = 5624
; TotalNumSgprs: 44
; NumVgprs: 80
; ScratchSize: 0
; MemoryBound: 0
; FloatMode: 240
; IeeeMode: 1
; LDSByteSize: 23680 bytes/workgroup (compile time only)
; SGPRBlocks: 12
; VGPRBlocks: 19
; NumSGPRsForWavesPerEU: 102
; NumVGPRsForWavesPerEU: 80
; Occupancy: 3
; WaveLimiterHint : 0
; COMPUTE_PGM_RSRC2:SCRATCH_EN: 0
; COMPUTE_PGM_RSRC2:USER_SGPR: 6
; COMPUTE_PGM_RSRC2:TRAP_HANDLER: 0
; COMPUTE_PGM_RSRC2:TGID_X_EN: 1
; COMPUTE_PGM_RSRC2:TGID_Y_EN: 0
; COMPUTE_PGM_RSRC2:TGID_Z_EN: 0
; COMPUTE_PGM_RSRC2:TIDIG_COMP_CNT: 2
	.section	.text._Z6kernelI9histogramILN6hipcub23BlockHistogramAlgorithmE1EEyLj320ELj16ELj320ELj100EEvPKT0_PS4_,"axG",@progbits,_Z6kernelI9histogramILN6hipcub23BlockHistogramAlgorithmE1EEyLj320ELj16ELj320ELj100EEvPKT0_PS4_,comdat
	.protected	_Z6kernelI9histogramILN6hipcub23BlockHistogramAlgorithmE1EEyLj320ELj16ELj320ELj100EEvPKT0_PS4_ ; -- Begin function _Z6kernelI9histogramILN6hipcub23BlockHistogramAlgorithmE1EEyLj320ELj16ELj320ELj100EEvPKT0_PS4_
	.globl	_Z6kernelI9histogramILN6hipcub23BlockHistogramAlgorithmE1EEyLj320ELj16ELj320ELj100EEvPKT0_PS4_
	.p2align	8
	.type	_Z6kernelI9histogramILN6hipcub23BlockHistogramAlgorithmE1EEyLj320ELj16ELj320ELj100EEvPKT0_PS4_,@function
_Z6kernelI9histogramILN6hipcub23BlockHistogramAlgorithmE1EEyLj320ELj16ELj320ELj100EEvPKT0_PS4_: ; @_Z6kernelI9histogramILN6hipcub23BlockHistogramAlgorithmE1EEyLj320ELj16ELj320ELj100EEvPKT0_PS4_
; %bb.0:
	s_mov_b64 s[42:43], s[2:3]
	s_mov_b64 s[40:41], s[0:1]
	s_mulk_i32 s6, 0x140
	s_add_u32 s40, s40, s7
	v_add_u32_e32 v4, s6, v0
	s_addc_u32 s41, s41, 0
	v_mov_b32_e32 v3, v4
	s_load_dwordx4 s[36:39], s[4:5], 0x0
	s_load_dword s2, s[4:5], 0x1c
	buffer_store_dword v3, off, s[40:43], 0 ; 4-byte Folded Spill
	s_nop 0
	buffer_store_dword v4, off, s[40:43], 0 offset:4 ; 4-byte Folded Spill
	v_mov_b32_e32 v36, 0
	v_mbcnt_lo_u32_b32 v35, -1, 0
	s_waitcnt lgkmcnt(0)
	v_mov_b32_e32 v5, s37
	v_mbcnt_hi_u32_b32 v35, -1, v35
	v_lshlrev_b32_e32 v69, 4, v0
	s_movk_i32 s3, 0x1c00
	v_cmp_lt_u32_e64 s[12:13], 31, v35
	s_movk_i32 s0, 0x140
	v_mad_i32_i24 v90, v0, -12, v69
	v_cmp_gt_u32_e64 s[0:1], s0, v0
	v_cmp_gt_u32_e64 s[16:17], 5, v0
	v_cmp_lt_u32_e64 s[18:19], 63, v0
	v_cmp_eq_u32_e64 s[22:23], 0, v0
	v_cmp_ne_u32_e64 s[24:25], 0, v0
	s_mov_b32 s33, 0
	v_or_b32_e32 v102, 6, v69
	v_or_b32_e32 v103, 5, v69
	;; [unrolled: 1-line block ×6, first 2 shown]
	v_lshlrev_b32_e32 v3, 4, v4
	v_mov_b32_e32 v4, v36
	v_lshlrev_b64 v[3:4], 3, v[3:4]
	v_add_co_u32_e32 v37, vcc, s36, v3
	v_addc_co_u32_e32 v38, vcc, v5, v4, vcc
	global_load_dwordx4 v[3:6], v[37:38], off offset:48
	global_load_dwordx4 v[7:10], v[37:38], off offset:32
	global_load_dwordx4 v[11:14], v[37:38], off offset:16
	global_load_dwordx4 v[19:22], v[37:38], off
	global_load_dwordx4 v[15:18], v[37:38], off offset:112
	global_load_dwordx4 v[23:26], v[37:38], off offset:96
	;; [unrolled: 1-line block ×4, first 2 shown]
	v_and_b32_e32 v37, 0x1c0, v0
	v_add_u32_e32 v38, v35, v37
	v_lshlrev_b32_e32 v39, 2, v38
	v_and_b32_e32 v39, 0xff8, v39
	v_lshl_add_u32 v70, v38, 7, v39
	v_and_or_b32 v38, v69, s3, v35
	v_lshrrev_b32_e32 v39, 2, v38
	v_and_b32_e32 v39, 0x718, v39
	v_lshlrev_b32_e32 v40, 3, v38
	v_add_u32_e32 v71, v39, v40
	v_add_u32_e32 v39, 64, v38
	v_lshrrev_b32_e32 v39, 2, v39
	v_and_b32_e32 v39, 0x738, v39
	v_add_u32_e32 v72, v39, v40
	v_or_b32_e32 v39, 0x80, v38
	v_lshrrev_b32_e32 v39, 2, v39
	v_and_b32_e32 v39, 0x738, v39
	v_add_u32_e32 v73, v39, v40
	v_add_u32_e32 v39, 0xc0, v38
	v_lshrrev_b32_e32 v39, 2, v39
	v_and_b32_e32 v39, 0x778, v39
	v_add_u32_e32 v74, v39, v40
	v_or_b32_e32 v39, 0x100, v38
	v_lshrrev_b32_e32 v39, 2, v39
	v_and_b32_e32 v39, 0x758, v39
	;; [unrolled: 8-line block ×4, first 2 shown]
	v_add_u32_e32 v79, v39, v40
	v_add_u32_e32 v39, 0x240, v38
	v_lshrrev_b32_e32 v39, 2, v39
	v_and_b32_e32 v39, 0x7b8, v39
	s_lshr_b32 s3, s2, 16
	v_add_u32_e32 v80, v39, v40
	v_or_b32_e32 v39, 0x280, v38
	s_and_b32 s2, s2, 0xffff
	v_mad_u32_u24 v1, v2, s3, v1
	v_lshrrev_b32_e32 v39, 2, v39
	v_mad_u64_u32 v[1:2], s[2:3], v1, s2, v[0:1]
	v_and_b32_e32 v39, 0x7b8, v39
	v_and_b32_e32 v2, 15, v35
	v_add_u32_e32 v81, v39, v40
	v_add_u32_e32 v39, 0x2c0, v38
	v_cmp_eq_u32_e64 s[2:3], 0, v2
	v_cmp_lt_u32_e64 s[4:5], 1, v2
	v_cmp_lt_u32_e64 s[6:7], 3, v2
	;; [unrolled: 1-line block ×3, first 2 shown]
	v_and_b32_e32 v2, 16, v35
	v_lshrrev_b32_e32 v39, 2, v39
	v_cmp_eq_u32_e64 s[10:11], 0, v2
	v_min_u32_e32 v2, 0x100, v37
	v_and_b32_e32 v39, 0x7f8, v39
	v_or_b32_e32 v2, 63, v2
	v_add_u32_e32 v82, v39, v40
	v_or_b32_e32 v39, 0x300, v38
	v_cmp_eq_u32_e64 s[14:15], v0, v2
	v_subrev_co_u32_e64 v2, s[20:21], 1, v35
	v_and_b32_e32 v37, 64, v35
	v_lshrrev_b32_e32 v39, 2, v39
	v_cmp_lt_i32_e32 vcc, v2, v37
	v_and_b32_e32 v39, 0x7d8, v39
	v_cndmask_b32_e32 v2, v2, v35, vcc
	v_add_u32_e32 v83, v39, v40
	v_add_u32_e32 v39, 0x340, v38
	v_lshlrev_b32_e32 v88, 2, v2
	v_lshrrev_b32_e32 v2, 4, v0
	v_lshrrev_b32_e32 v39, 2, v39
	v_and_b32_e32 v89, 28, v2
	v_and_b32_e32 v2, 7, v35
	;; [unrolled: 1-line block ×3, first 2 shown]
	v_cmp_eq_u32_e64 s[26:27], 0, v2
	v_cmp_lt_u32_e64 s[28:29], 1, v2
	v_cmp_lt_u32_e64 s[30:31], 3, v2
	v_lshlrev_b32_e32 v2, 2, v0
	v_add_u32_e32 v84, v39, v40
	v_or_b32_e32 v39, 0x380, v38
	v_add_u32_e32 v38, 0x3c0, v38
	v_and_b32_e32 v35, 0x7f8, v2
	v_lshrrev_b32_e32 v39, 2, v39
	v_lshrrev_b32_e32 v38, 2, v38
	v_lshl_add_u32 v91, v0, 7, v35
	v_mov_b32_e32 v35, 0xa500
	v_and_b32_e32 v39, 0x7f8, v39
	v_and_b32_e32 v38, 0xff8, v38
	v_add_u32_e32 v92, v90, v2
	v_lshl_add_u32 v87, v0, 3, v35
	v_sub_u32_e32 v0, 0, v2
	v_lshrrev_b32_e32 v1, 4, v1
	v_add_u32_e32 v85, v39, v40
	v_add_u32_e32 v86, v38, v40
	v_and_b32_e32 v109, 0xffffffc, v1
	v_add_u32_e32 v110, v92, v0
	s_branch .LBB59_2
.LBB59_1:                               ;   in Loop: Header=BB59_2 Depth=1
	s_or_b64 exec, exec, s[34:35]
	s_add_i32 s33, s33, 1
	s_cmpk_lg_i32 s33, 0x64
	s_cbranch_scc0 .LBB59_85
.LBB59_2:                               ; =>This Loop Header: Depth=1
                                        ;     Child Loop BB59_6 Depth 2
	s_and_saveexec_b64 s[34:35], s[0:1]
; %bb.3:                                ;   in Loop: Header=BB59_2 Depth=1
	v_mov_b32_e32 v37, v36
	ds_write_b64 v87, v[36:37]
; %bb.4:                                ;   in Loop: Header=BB59_2 Depth=1
	s_or_b64 exec, exec, s[34:35]
	s_waitcnt vmcnt(0) lgkmcnt(0)
	s_barrier
	ds_write2_b64 v70, v[19:20], v[21:22] offset1:1
	ds_write2_b64 v70, v[11:12], v[13:14] offset0:2 offset1:3
	ds_write2_b64 v70, v[7:8], v[9:10] offset0:4 offset1:5
	;; [unrolled: 1-line block ×7, first 2 shown]
	; wave barrier
	ds_read_b64 v[37:38], v71
	ds_read_b64 v[39:40], v72 offset:512
	ds_read_b64 v[41:42], v73 offset:1024
	ds_read_b64 v[43:44], v74 offset:1536
	ds_read_b64 v[45:46], v75 offset:2048
	ds_read_b64 v[47:48], v76 offset:2560
	ds_read_b64 v[49:50], v77 offset:3072
	ds_read_b64 v[51:52], v78 offset:3584
	ds_read_b64 v[53:54], v79 offset:4096
	ds_read_b64 v[55:56], v80 offset:4608
	ds_read_b64 v[57:58], v81 offset:5120
	ds_read_b64 v[59:60], v82 offset:5632
	ds_read_b64 v[61:62], v83 offset:6144
	ds_read_b64 v[63:64], v84 offset:6656
	ds_read_b64 v[65:66], v85 offset:7168
	ds_read_b64 v[67:68], v86 offset:7680
	v_mov_b32_e32 v24, 0
	v_mov_b32_e32 v25, 0
	s_waitcnt lgkmcnt(0)
	s_barrier
	; wave barrier
	s_barrier
	s_branch .LBB59_6
.LBB59_5:                               ;   in Loop: Header=BB59_6 Depth=2
	s_andn2_b64 vcc, exec, s[34:35]
	s_cbranch_vccz .LBB59_46
.LBB59_6:                               ;   Parent Loop BB59_2 Depth=1
                                        ; =>  This Inner Loop Header: Depth=2
	v_mov_b32_e32 v32, v37
	v_mov_b32_e32 v33, v38
	v_lshrrev_b64 v[34:35], v24, v[32:33]
	v_mov_b32_e32 v30, v39
	v_and_b32_e32 v37, 1, v34
	v_add_co_u32_e32 v38, vcc, -1, v37
	v_mov_b32_e32 v31, v40
	v_addc_co_u32_e64 v39, s[34:35], 0, -1, vcc
	v_cmp_ne_u32_e32 vcc, 0, v37
	v_xor_b32_e32 v37, vcc_hi, v39
	v_and_b32_e32 v39, exec_hi, v37
	v_lshlrev_b32_e32 v37, 30, v34
	v_xor_b32_e32 v38, vcc_lo, v38
	v_cmp_gt_i64_e32 vcc, 0, v[36:37]
	v_not_b32_e32 v37, v37
	v_ashrrev_i32_e32 v37, 31, v37
	v_and_b32_e32 v38, exec_lo, v38
	v_xor_b32_e32 v40, vcc_hi, v37
	v_xor_b32_e32 v37, vcc_lo, v37
	v_and_b32_e32 v38, v38, v37
	v_lshlrev_b32_e32 v37, 29, v34
	v_cmp_gt_i64_e32 vcc, 0, v[36:37]
	v_not_b32_e32 v37, v37
	v_ashrrev_i32_e32 v37, 31, v37
	v_and_b32_e32 v39, v39, v40
	v_xor_b32_e32 v40, vcc_hi, v37
	v_xor_b32_e32 v37, vcc_lo, v37
	v_and_b32_e32 v38, v38, v37
	v_lshlrev_b32_e32 v37, 28, v34
	v_cmp_gt_i64_e32 vcc, 0, v[36:37]
	v_not_b32_e32 v37, v37
	v_ashrrev_i32_e32 v37, 31, v37
	v_and_b32_e32 v39, v39, v40
	;; [unrolled: 8-line block ×5, first 2 shown]
	v_xor_b32_e32 v40, vcc_hi, v37
	v_xor_b32_e32 v37, vcc_lo, v37
	v_mov_b32_e32 v35, 20
	v_and_b32_e32 v39, v39, v40
	v_and_b32_e32 v40, v38, v37
	v_lshlrev_b32_e32 v37, 24, v34
	v_mul_u32_u24_sdwa v35, v34, v35 dst_sel:DWORD dst_unused:UNUSED_PAD src0_sel:BYTE_0 src1_sel:DWORD
	v_cmp_gt_i64_e32 vcc, 0, v[36:37]
	v_not_b32_e32 v34, v37
	v_ashrrev_i32_e32 v34, 31, v34
	v_xor_b32_e32 v37, vcc_hi, v34
	v_xor_b32_e32 v34, vcc_lo, v34
	v_and_b32_e32 v38, v39, v37
	v_and_b32_e32 v37, v40, v34
	v_mbcnt_lo_u32_b32 v34, v37, 0
	v_mbcnt_hi_u32_b32 v34, v38, v34
	v_cmp_ne_u64_e32 vcc, 0, v[37:38]
	v_mov_b32_e32 v28, v41
	v_mov_b32_e32 v26, v43
	;; [unrolled: 1-line block ×14, first 2 shown]
	v_cmp_eq_u32_e64 s[34:35], 0, v34
	v_mov_b32_e32 v29, v42
	v_mov_b32_e32 v27, v44
	v_mov_b32_e32 v23, v46
	v_mov_b32_e32 v21, v48
	v_mov_b32_e32 v19, v50
	v_mov_b32_e32 v17, v52
	v_mov_b32_e32 v15, v54
	v_mov_b32_e32 v13, v56
	v_mov_b32_e32 v11, v58
	v_mov_b32_e32 v9, v60
	v_mov_b32_e32 v7, v62
	v_mov_b32_e32 v5, v64
	v_mov_b32_e32 v3, v66
	v_mov_b32_e32 v1, v68
	s_and_b64 s[36:37], vcc, s[34:35]
	v_add_u32_e32 v41, v109, v35
	ds_write2_b32 v69, v36, v36 offset0:5 offset1:6
	ds_write2_b32 v69, v36, v36 offset0:7 offset1:8
	s_waitcnt lgkmcnt(0)
	s_barrier
	; wave barrier
	s_and_saveexec_b64 s[34:35], s[36:37]
; %bb.7:                                ;   in Loop: Header=BB59_6 Depth=2
	v_bcnt_u32_b32 v35, v37, 0
	v_bcnt_u32_b32 v35, v38, v35
	ds_write_b32 v41, v35 offset:20
; %bb.8:                                ;   in Loop: Header=BB59_6 Depth=2
	s_or_b64 exec, exec, s[34:35]
	v_lshrrev_b64 v[38:39], v24, v[30:31]
	v_and_b32_e32 v35, 0xff, v38
	v_mul_u32_u24_e32 v39, 20, v35
	v_mad_u32_u24 v35, v35, 20, v109
	; wave barrier
	ds_read_b32 v42, v35 offset:20
	v_and_b32_e32 v35, 1, v38
	v_add_co_u32_e32 v37, vcc, -1, v35
	v_addc_co_u32_e64 v40, s[34:35], 0, -1, vcc
	v_cmp_ne_u32_e32 vcc, 0, v35
	v_xor_b32_e32 v37, vcc_lo, v37
	v_xor_b32_e32 v35, vcc_hi, v40
	v_and_b32_e32 v40, exec_lo, v37
	v_lshlrev_b32_e32 v37, 30, v38
	v_cmp_gt_i64_e32 vcc, 0, v[36:37]
	v_not_b32_e32 v37, v37
	v_ashrrev_i32_e32 v37, 31, v37
	v_xor_b32_e32 v43, vcc_hi, v37
	v_xor_b32_e32 v37, vcc_lo, v37
	v_and_b32_e32 v40, v40, v37
	v_lshlrev_b32_e32 v37, 29, v38
	v_cmp_gt_i64_e32 vcc, 0, v[36:37]
	v_not_b32_e32 v37, v37
	v_and_b32_e32 v35, exec_hi, v35
	v_ashrrev_i32_e32 v37, 31, v37
	v_and_b32_e32 v35, v35, v43
	v_xor_b32_e32 v43, vcc_hi, v37
	v_xor_b32_e32 v37, vcc_lo, v37
	v_and_b32_e32 v40, v40, v37
	v_lshlrev_b32_e32 v37, 28, v38
	v_cmp_gt_i64_e32 vcc, 0, v[36:37]
	v_not_b32_e32 v37, v37
	v_ashrrev_i32_e32 v37, 31, v37
	v_and_b32_e32 v35, v35, v43
	v_xor_b32_e32 v43, vcc_hi, v37
	v_xor_b32_e32 v37, vcc_lo, v37
	v_and_b32_e32 v40, v40, v37
	v_lshlrev_b32_e32 v37, 27, v38
	v_cmp_gt_i64_e32 vcc, 0, v[36:37]
	v_not_b32_e32 v37, v37
	;; [unrolled: 8-line block ×5, first 2 shown]
	v_ashrrev_i32_e32 v37, 31, v37
	v_xor_b32_e32 v38, vcc_hi, v37
	v_xor_b32_e32 v37, vcc_lo, v37
	v_and_b32_e32 v35, v35, v43
	v_and_b32_e32 v37, v40, v37
	;; [unrolled: 1-line block ×3, first 2 shown]
	v_mbcnt_lo_u32_b32 v35, v37, 0
	v_mbcnt_hi_u32_b32 v43, v38, v35
	v_cmp_ne_u64_e32 vcc, 0, v[37:38]
	v_cmp_eq_u32_e64 s[34:35], 0, v43
	s_and_b64 s[36:37], vcc, s[34:35]
	v_add_u32_e32 v44, v109, v39
	; wave barrier
	s_and_saveexec_b64 s[34:35], s[36:37]
	s_cbranch_execz .LBB59_10
; %bb.9:                                ;   in Loop: Header=BB59_6 Depth=2
	v_bcnt_u32_b32 v35, v37, 0
	v_bcnt_u32_b32 v35, v38, v35
	s_waitcnt lgkmcnt(0)
	v_add_u32_e32 v35, v42, v35
	ds_write_b32 v44, v35 offset:20
.LBB59_10:                              ;   in Loop: Header=BB59_6 Depth=2
	s_or_b64 exec, exec, s[34:35]
	v_lshrrev_b64 v[38:39], v24, v[28:29]
	v_and_b32_e32 v35, 0xff, v38
	v_mul_u32_u24_e32 v39, 20, v35
	v_mad_u32_u24 v35, v35, 20, v109
	; wave barrier
	ds_read_b32 v45, v35 offset:20
	v_and_b32_e32 v35, 1, v38
	v_add_co_u32_e32 v37, vcc, -1, v35
	v_addc_co_u32_e64 v40, s[34:35], 0, -1, vcc
	v_cmp_ne_u32_e32 vcc, 0, v35
	v_xor_b32_e32 v37, vcc_lo, v37
	v_xor_b32_e32 v35, vcc_hi, v40
	v_and_b32_e32 v40, exec_lo, v37
	v_lshlrev_b32_e32 v37, 30, v38
	v_cmp_gt_i64_e32 vcc, 0, v[36:37]
	v_not_b32_e32 v37, v37
	v_ashrrev_i32_e32 v37, 31, v37
	v_xor_b32_e32 v46, vcc_hi, v37
	v_xor_b32_e32 v37, vcc_lo, v37
	v_and_b32_e32 v40, v40, v37
	v_lshlrev_b32_e32 v37, 29, v38
	v_cmp_gt_i64_e32 vcc, 0, v[36:37]
	v_not_b32_e32 v37, v37
	v_and_b32_e32 v35, exec_hi, v35
	v_ashrrev_i32_e32 v37, 31, v37
	v_and_b32_e32 v35, v35, v46
	v_xor_b32_e32 v46, vcc_hi, v37
	v_xor_b32_e32 v37, vcc_lo, v37
	v_and_b32_e32 v40, v40, v37
	v_lshlrev_b32_e32 v37, 28, v38
	v_cmp_gt_i64_e32 vcc, 0, v[36:37]
	v_not_b32_e32 v37, v37
	v_ashrrev_i32_e32 v37, 31, v37
	v_and_b32_e32 v35, v35, v46
	v_xor_b32_e32 v46, vcc_hi, v37
	v_xor_b32_e32 v37, vcc_lo, v37
	v_and_b32_e32 v40, v40, v37
	v_lshlrev_b32_e32 v37, 27, v38
	v_cmp_gt_i64_e32 vcc, 0, v[36:37]
	v_not_b32_e32 v37, v37
	;; [unrolled: 8-line block ×5, first 2 shown]
	v_ashrrev_i32_e32 v37, 31, v37
	v_xor_b32_e32 v38, vcc_hi, v37
	v_xor_b32_e32 v37, vcc_lo, v37
	v_and_b32_e32 v35, v35, v46
	v_and_b32_e32 v37, v40, v37
	;; [unrolled: 1-line block ×3, first 2 shown]
	v_mbcnt_lo_u32_b32 v35, v37, 0
	v_mbcnt_hi_u32_b32 v46, v38, v35
	v_cmp_ne_u64_e32 vcc, 0, v[37:38]
	v_cmp_eq_u32_e64 s[34:35], 0, v46
	s_and_b64 s[36:37], vcc, s[34:35]
	v_add_u32_e32 v47, v109, v39
	; wave barrier
	s_and_saveexec_b64 s[34:35], s[36:37]
	s_cbranch_execz .LBB59_12
; %bb.11:                               ;   in Loop: Header=BB59_6 Depth=2
	v_bcnt_u32_b32 v35, v37, 0
	v_bcnt_u32_b32 v35, v38, v35
	s_waitcnt lgkmcnt(0)
	v_add_u32_e32 v35, v45, v35
	ds_write_b32 v47, v35 offset:20
.LBB59_12:                              ;   in Loop: Header=BB59_6 Depth=2
	s_or_b64 exec, exec, s[34:35]
	v_lshrrev_b64 v[38:39], v24, v[26:27]
	v_and_b32_e32 v35, 0xff, v38
	v_mul_u32_u24_e32 v39, 20, v35
	v_mad_u32_u24 v35, v35, 20, v109
	; wave barrier
	ds_read_b32 v48, v35 offset:20
	v_and_b32_e32 v35, 1, v38
	v_add_co_u32_e32 v37, vcc, -1, v35
	v_addc_co_u32_e64 v40, s[34:35], 0, -1, vcc
	v_cmp_ne_u32_e32 vcc, 0, v35
	v_xor_b32_e32 v37, vcc_lo, v37
	v_xor_b32_e32 v35, vcc_hi, v40
	v_and_b32_e32 v40, exec_lo, v37
	v_lshlrev_b32_e32 v37, 30, v38
	v_cmp_gt_i64_e32 vcc, 0, v[36:37]
	v_not_b32_e32 v37, v37
	v_ashrrev_i32_e32 v37, 31, v37
	v_xor_b32_e32 v49, vcc_hi, v37
	v_xor_b32_e32 v37, vcc_lo, v37
	v_and_b32_e32 v40, v40, v37
	v_lshlrev_b32_e32 v37, 29, v38
	v_cmp_gt_i64_e32 vcc, 0, v[36:37]
	v_not_b32_e32 v37, v37
	v_and_b32_e32 v35, exec_hi, v35
	v_ashrrev_i32_e32 v37, 31, v37
	v_and_b32_e32 v35, v35, v49
	v_xor_b32_e32 v49, vcc_hi, v37
	v_xor_b32_e32 v37, vcc_lo, v37
	v_and_b32_e32 v40, v40, v37
	v_lshlrev_b32_e32 v37, 28, v38
	v_cmp_gt_i64_e32 vcc, 0, v[36:37]
	v_not_b32_e32 v37, v37
	v_ashrrev_i32_e32 v37, 31, v37
	v_and_b32_e32 v35, v35, v49
	v_xor_b32_e32 v49, vcc_hi, v37
	v_xor_b32_e32 v37, vcc_lo, v37
	v_and_b32_e32 v40, v40, v37
	v_lshlrev_b32_e32 v37, 27, v38
	v_cmp_gt_i64_e32 vcc, 0, v[36:37]
	v_not_b32_e32 v37, v37
	;; [unrolled: 8-line block ×5, first 2 shown]
	v_ashrrev_i32_e32 v37, 31, v37
	v_xor_b32_e32 v38, vcc_hi, v37
	v_xor_b32_e32 v37, vcc_lo, v37
	v_and_b32_e32 v35, v35, v49
	v_and_b32_e32 v37, v40, v37
	;; [unrolled: 1-line block ×3, first 2 shown]
	v_mbcnt_lo_u32_b32 v35, v37, 0
	v_mbcnt_hi_u32_b32 v49, v38, v35
	v_cmp_ne_u64_e32 vcc, 0, v[37:38]
	v_cmp_eq_u32_e64 s[34:35], 0, v49
	s_and_b64 s[36:37], vcc, s[34:35]
	v_add_u32_e32 v50, v109, v39
	; wave barrier
	s_and_saveexec_b64 s[34:35], s[36:37]
	s_cbranch_execz .LBB59_14
; %bb.13:                               ;   in Loop: Header=BB59_6 Depth=2
	v_bcnt_u32_b32 v35, v37, 0
	v_bcnt_u32_b32 v35, v38, v35
	s_waitcnt lgkmcnt(0)
	v_add_u32_e32 v35, v48, v35
	ds_write_b32 v50, v35 offset:20
.LBB59_14:                              ;   in Loop: Header=BB59_6 Depth=2
	s_or_b64 exec, exec, s[34:35]
	v_lshrrev_b64 v[38:39], v24, v[22:23]
	v_and_b32_e32 v35, 0xff, v38
	v_mul_u32_u24_e32 v39, 20, v35
	v_mad_u32_u24 v35, v35, 20, v109
	; wave barrier
	ds_read_b32 v51, v35 offset:20
	v_and_b32_e32 v35, 1, v38
	v_add_co_u32_e32 v37, vcc, -1, v35
	v_addc_co_u32_e64 v40, s[34:35], 0, -1, vcc
	v_cmp_ne_u32_e32 vcc, 0, v35
	v_xor_b32_e32 v37, vcc_lo, v37
	v_xor_b32_e32 v35, vcc_hi, v40
	v_and_b32_e32 v40, exec_lo, v37
	v_lshlrev_b32_e32 v37, 30, v38
	v_cmp_gt_i64_e32 vcc, 0, v[36:37]
	v_not_b32_e32 v37, v37
	v_ashrrev_i32_e32 v37, 31, v37
	v_xor_b32_e32 v52, vcc_hi, v37
	v_xor_b32_e32 v37, vcc_lo, v37
	v_and_b32_e32 v40, v40, v37
	v_lshlrev_b32_e32 v37, 29, v38
	v_cmp_gt_i64_e32 vcc, 0, v[36:37]
	v_not_b32_e32 v37, v37
	v_and_b32_e32 v35, exec_hi, v35
	v_ashrrev_i32_e32 v37, 31, v37
	v_and_b32_e32 v35, v35, v52
	v_xor_b32_e32 v52, vcc_hi, v37
	v_xor_b32_e32 v37, vcc_lo, v37
	v_and_b32_e32 v40, v40, v37
	v_lshlrev_b32_e32 v37, 28, v38
	v_cmp_gt_i64_e32 vcc, 0, v[36:37]
	v_not_b32_e32 v37, v37
	v_ashrrev_i32_e32 v37, 31, v37
	v_and_b32_e32 v35, v35, v52
	v_xor_b32_e32 v52, vcc_hi, v37
	v_xor_b32_e32 v37, vcc_lo, v37
	v_and_b32_e32 v40, v40, v37
	v_lshlrev_b32_e32 v37, 27, v38
	v_cmp_gt_i64_e32 vcc, 0, v[36:37]
	v_not_b32_e32 v37, v37
	;; [unrolled: 8-line block ×5, first 2 shown]
	v_ashrrev_i32_e32 v37, 31, v37
	v_xor_b32_e32 v38, vcc_hi, v37
	v_xor_b32_e32 v37, vcc_lo, v37
	v_and_b32_e32 v35, v35, v52
	v_and_b32_e32 v37, v40, v37
	v_and_b32_e32 v38, v35, v38
	v_mbcnt_lo_u32_b32 v35, v37, 0
	v_mbcnt_hi_u32_b32 v52, v38, v35
	v_cmp_ne_u64_e32 vcc, 0, v[37:38]
	v_cmp_eq_u32_e64 s[34:35], 0, v52
	s_and_b64 s[36:37], vcc, s[34:35]
	v_add_u32_e32 v53, v109, v39
	; wave barrier
	s_and_saveexec_b64 s[34:35], s[36:37]
	s_cbranch_execz .LBB59_16
; %bb.15:                               ;   in Loop: Header=BB59_6 Depth=2
	v_bcnt_u32_b32 v35, v37, 0
	v_bcnt_u32_b32 v35, v38, v35
	s_waitcnt lgkmcnt(0)
	v_add_u32_e32 v35, v51, v35
	ds_write_b32 v53, v35 offset:20
.LBB59_16:                              ;   in Loop: Header=BB59_6 Depth=2
	s_or_b64 exec, exec, s[34:35]
	v_lshrrev_b64 v[38:39], v24, v[20:21]
	v_and_b32_e32 v35, 0xff, v38
	v_mul_u32_u24_e32 v39, 20, v35
	v_mad_u32_u24 v35, v35, 20, v109
	; wave barrier
	ds_read_b32 v54, v35 offset:20
	v_and_b32_e32 v35, 1, v38
	v_add_co_u32_e32 v37, vcc, -1, v35
	v_addc_co_u32_e64 v40, s[34:35], 0, -1, vcc
	v_cmp_ne_u32_e32 vcc, 0, v35
	v_xor_b32_e32 v37, vcc_lo, v37
	v_xor_b32_e32 v35, vcc_hi, v40
	v_and_b32_e32 v40, exec_lo, v37
	v_lshlrev_b32_e32 v37, 30, v38
	v_cmp_gt_i64_e32 vcc, 0, v[36:37]
	v_not_b32_e32 v37, v37
	v_ashrrev_i32_e32 v37, 31, v37
	v_xor_b32_e32 v55, vcc_hi, v37
	v_xor_b32_e32 v37, vcc_lo, v37
	v_and_b32_e32 v40, v40, v37
	v_lshlrev_b32_e32 v37, 29, v38
	v_cmp_gt_i64_e32 vcc, 0, v[36:37]
	v_not_b32_e32 v37, v37
	v_and_b32_e32 v35, exec_hi, v35
	v_ashrrev_i32_e32 v37, 31, v37
	v_and_b32_e32 v35, v35, v55
	v_xor_b32_e32 v55, vcc_hi, v37
	v_xor_b32_e32 v37, vcc_lo, v37
	v_and_b32_e32 v40, v40, v37
	v_lshlrev_b32_e32 v37, 28, v38
	v_cmp_gt_i64_e32 vcc, 0, v[36:37]
	v_not_b32_e32 v37, v37
	v_ashrrev_i32_e32 v37, 31, v37
	v_and_b32_e32 v35, v35, v55
	v_xor_b32_e32 v55, vcc_hi, v37
	v_xor_b32_e32 v37, vcc_lo, v37
	v_and_b32_e32 v40, v40, v37
	v_lshlrev_b32_e32 v37, 27, v38
	v_cmp_gt_i64_e32 vcc, 0, v[36:37]
	v_not_b32_e32 v37, v37
	;; [unrolled: 8-line block ×5, first 2 shown]
	v_ashrrev_i32_e32 v37, 31, v37
	v_xor_b32_e32 v38, vcc_hi, v37
	v_xor_b32_e32 v37, vcc_lo, v37
	v_and_b32_e32 v35, v35, v55
	v_and_b32_e32 v37, v40, v37
	;; [unrolled: 1-line block ×3, first 2 shown]
	v_mbcnt_lo_u32_b32 v35, v37, 0
	v_mbcnt_hi_u32_b32 v55, v38, v35
	v_cmp_ne_u64_e32 vcc, 0, v[37:38]
	v_cmp_eq_u32_e64 s[34:35], 0, v55
	s_and_b64 s[36:37], vcc, s[34:35]
	v_add_u32_e32 v56, v109, v39
	; wave barrier
	s_and_saveexec_b64 s[34:35], s[36:37]
	s_cbranch_execz .LBB59_18
; %bb.17:                               ;   in Loop: Header=BB59_6 Depth=2
	v_bcnt_u32_b32 v35, v37, 0
	v_bcnt_u32_b32 v35, v38, v35
	s_waitcnt lgkmcnt(0)
	v_add_u32_e32 v35, v54, v35
	ds_write_b32 v56, v35 offset:20
.LBB59_18:                              ;   in Loop: Header=BB59_6 Depth=2
	s_or_b64 exec, exec, s[34:35]
	v_lshrrev_b64 v[38:39], v24, v[18:19]
	v_and_b32_e32 v35, 0xff, v38
	v_mul_u32_u24_e32 v39, 20, v35
	v_mad_u32_u24 v35, v35, 20, v109
	; wave barrier
	ds_read_b32 v57, v35 offset:20
	v_and_b32_e32 v35, 1, v38
	v_add_co_u32_e32 v37, vcc, -1, v35
	v_addc_co_u32_e64 v40, s[34:35], 0, -1, vcc
	v_cmp_ne_u32_e32 vcc, 0, v35
	v_xor_b32_e32 v37, vcc_lo, v37
	v_xor_b32_e32 v35, vcc_hi, v40
	v_and_b32_e32 v40, exec_lo, v37
	v_lshlrev_b32_e32 v37, 30, v38
	v_cmp_gt_i64_e32 vcc, 0, v[36:37]
	v_not_b32_e32 v37, v37
	v_ashrrev_i32_e32 v37, 31, v37
	v_xor_b32_e32 v58, vcc_hi, v37
	v_xor_b32_e32 v37, vcc_lo, v37
	v_and_b32_e32 v40, v40, v37
	v_lshlrev_b32_e32 v37, 29, v38
	v_cmp_gt_i64_e32 vcc, 0, v[36:37]
	v_not_b32_e32 v37, v37
	v_and_b32_e32 v35, exec_hi, v35
	v_ashrrev_i32_e32 v37, 31, v37
	v_and_b32_e32 v35, v35, v58
	v_xor_b32_e32 v58, vcc_hi, v37
	v_xor_b32_e32 v37, vcc_lo, v37
	v_and_b32_e32 v40, v40, v37
	v_lshlrev_b32_e32 v37, 28, v38
	v_cmp_gt_i64_e32 vcc, 0, v[36:37]
	v_not_b32_e32 v37, v37
	v_ashrrev_i32_e32 v37, 31, v37
	v_and_b32_e32 v35, v35, v58
	v_xor_b32_e32 v58, vcc_hi, v37
	v_xor_b32_e32 v37, vcc_lo, v37
	v_and_b32_e32 v40, v40, v37
	v_lshlrev_b32_e32 v37, 27, v38
	v_cmp_gt_i64_e32 vcc, 0, v[36:37]
	v_not_b32_e32 v37, v37
	;; [unrolled: 8-line block ×5, first 2 shown]
	v_ashrrev_i32_e32 v37, 31, v37
	v_xor_b32_e32 v38, vcc_hi, v37
	v_xor_b32_e32 v37, vcc_lo, v37
	v_and_b32_e32 v35, v35, v58
	v_and_b32_e32 v37, v40, v37
	v_and_b32_e32 v38, v35, v38
	v_mbcnt_lo_u32_b32 v35, v37, 0
	v_mbcnt_hi_u32_b32 v58, v38, v35
	v_cmp_ne_u64_e32 vcc, 0, v[37:38]
	v_cmp_eq_u32_e64 s[34:35], 0, v58
	s_and_b64 s[36:37], vcc, s[34:35]
	v_add_u32_e32 v59, v109, v39
	; wave barrier
	s_and_saveexec_b64 s[34:35], s[36:37]
	s_cbranch_execz .LBB59_20
; %bb.19:                               ;   in Loop: Header=BB59_6 Depth=2
	v_bcnt_u32_b32 v35, v37, 0
	v_bcnt_u32_b32 v35, v38, v35
	s_waitcnt lgkmcnt(0)
	v_add_u32_e32 v35, v57, v35
	ds_write_b32 v59, v35 offset:20
.LBB59_20:                              ;   in Loop: Header=BB59_6 Depth=2
	s_or_b64 exec, exec, s[34:35]
	v_lshrrev_b64 v[38:39], v24, v[16:17]
	v_and_b32_e32 v35, 0xff, v38
	v_mul_u32_u24_e32 v39, 20, v35
	v_mad_u32_u24 v35, v35, 20, v109
	; wave barrier
	ds_read_b32 v60, v35 offset:20
	v_and_b32_e32 v35, 1, v38
	v_add_co_u32_e32 v37, vcc, -1, v35
	v_addc_co_u32_e64 v40, s[34:35], 0, -1, vcc
	v_cmp_ne_u32_e32 vcc, 0, v35
	v_xor_b32_e32 v37, vcc_lo, v37
	v_xor_b32_e32 v35, vcc_hi, v40
	v_and_b32_e32 v40, exec_lo, v37
	v_lshlrev_b32_e32 v37, 30, v38
	v_cmp_gt_i64_e32 vcc, 0, v[36:37]
	v_not_b32_e32 v37, v37
	v_ashrrev_i32_e32 v37, 31, v37
	v_xor_b32_e32 v61, vcc_hi, v37
	v_xor_b32_e32 v37, vcc_lo, v37
	v_and_b32_e32 v40, v40, v37
	v_lshlrev_b32_e32 v37, 29, v38
	v_cmp_gt_i64_e32 vcc, 0, v[36:37]
	v_not_b32_e32 v37, v37
	v_and_b32_e32 v35, exec_hi, v35
	v_ashrrev_i32_e32 v37, 31, v37
	v_and_b32_e32 v35, v35, v61
	v_xor_b32_e32 v61, vcc_hi, v37
	v_xor_b32_e32 v37, vcc_lo, v37
	v_and_b32_e32 v40, v40, v37
	v_lshlrev_b32_e32 v37, 28, v38
	v_cmp_gt_i64_e32 vcc, 0, v[36:37]
	v_not_b32_e32 v37, v37
	v_ashrrev_i32_e32 v37, 31, v37
	v_and_b32_e32 v35, v35, v61
	v_xor_b32_e32 v61, vcc_hi, v37
	v_xor_b32_e32 v37, vcc_lo, v37
	v_and_b32_e32 v40, v40, v37
	v_lshlrev_b32_e32 v37, 27, v38
	v_cmp_gt_i64_e32 vcc, 0, v[36:37]
	v_not_b32_e32 v37, v37
	;; [unrolled: 8-line block ×5, first 2 shown]
	v_ashrrev_i32_e32 v37, 31, v37
	v_xor_b32_e32 v38, vcc_hi, v37
	v_xor_b32_e32 v37, vcc_lo, v37
	v_and_b32_e32 v35, v35, v61
	v_and_b32_e32 v37, v40, v37
	;; [unrolled: 1-line block ×3, first 2 shown]
	v_mbcnt_lo_u32_b32 v35, v37, 0
	v_mbcnt_hi_u32_b32 v61, v38, v35
	v_cmp_ne_u64_e32 vcc, 0, v[37:38]
	v_cmp_eq_u32_e64 s[34:35], 0, v61
	s_and_b64 s[36:37], vcc, s[34:35]
	v_add_u32_e32 v62, v109, v39
	; wave barrier
	s_and_saveexec_b64 s[34:35], s[36:37]
	s_cbranch_execz .LBB59_22
; %bb.21:                               ;   in Loop: Header=BB59_6 Depth=2
	v_bcnt_u32_b32 v35, v37, 0
	v_bcnt_u32_b32 v35, v38, v35
	s_waitcnt lgkmcnt(0)
	v_add_u32_e32 v35, v60, v35
	ds_write_b32 v62, v35 offset:20
.LBB59_22:                              ;   in Loop: Header=BB59_6 Depth=2
	s_or_b64 exec, exec, s[34:35]
	v_lshrrev_b64 v[38:39], v24, v[14:15]
	v_and_b32_e32 v35, 0xff, v38
	v_mul_u32_u24_e32 v39, 20, v35
	v_mad_u32_u24 v35, v35, 20, v109
	; wave barrier
	ds_read_b32 v63, v35 offset:20
	v_and_b32_e32 v35, 1, v38
	v_add_co_u32_e32 v37, vcc, -1, v35
	v_addc_co_u32_e64 v40, s[34:35], 0, -1, vcc
	v_cmp_ne_u32_e32 vcc, 0, v35
	v_xor_b32_e32 v37, vcc_lo, v37
	v_xor_b32_e32 v35, vcc_hi, v40
	v_and_b32_e32 v40, exec_lo, v37
	v_lshlrev_b32_e32 v37, 30, v38
	v_cmp_gt_i64_e32 vcc, 0, v[36:37]
	v_not_b32_e32 v37, v37
	v_ashrrev_i32_e32 v37, 31, v37
	v_xor_b32_e32 v64, vcc_hi, v37
	v_xor_b32_e32 v37, vcc_lo, v37
	v_and_b32_e32 v40, v40, v37
	v_lshlrev_b32_e32 v37, 29, v38
	v_cmp_gt_i64_e32 vcc, 0, v[36:37]
	v_not_b32_e32 v37, v37
	v_and_b32_e32 v35, exec_hi, v35
	v_ashrrev_i32_e32 v37, 31, v37
	v_and_b32_e32 v35, v35, v64
	v_xor_b32_e32 v64, vcc_hi, v37
	v_xor_b32_e32 v37, vcc_lo, v37
	v_and_b32_e32 v40, v40, v37
	v_lshlrev_b32_e32 v37, 28, v38
	v_cmp_gt_i64_e32 vcc, 0, v[36:37]
	v_not_b32_e32 v37, v37
	v_ashrrev_i32_e32 v37, 31, v37
	v_and_b32_e32 v35, v35, v64
	v_xor_b32_e32 v64, vcc_hi, v37
	v_xor_b32_e32 v37, vcc_lo, v37
	v_and_b32_e32 v40, v40, v37
	v_lshlrev_b32_e32 v37, 27, v38
	v_cmp_gt_i64_e32 vcc, 0, v[36:37]
	v_not_b32_e32 v37, v37
	;; [unrolled: 8-line block ×5, first 2 shown]
	v_ashrrev_i32_e32 v37, 31, v37
	v_xor_b32_e32 v38, vcc_hi, v37
	v_xor_b32_e32 v37, vcc_lo, v37
	v_and_b32_e32 v35, v35, v64
	v_and_b32_e32 v37, v40, v37
	;; [unrolled: 1-line block ×3, first 2 shown]
	v_mbcnt_lo_u32_b32 v35, v37, 0
	v_mbcnt_hi_u32_b32 v64, v38, v35
	v_cmp_ne_u64_e32 vcc, 0, v[37:38]
	v_cmp_eq_u32_e64 s[34:35], 0, v64
	s_and_b64 s[36:37], vcc, s[34:35]
	v_add_u32_e32 v65, v109, v39
	; wave barrier
	s_and_saveexec_b64 s[34:35], s[36:37]
	s_cbranch_execz .LBB59_24
; %bb.23:                               ;   in Loop: Header=BB59_6 Depth=2
	v_bcnt_u32_b32 v35, v37, 0
	v_bcnt_u32_b32 v35, v38, v35
	s_waitcnt lgkmcnt(0)
	v_add_u32_e32 v35, v63, v35
	ds_write_b32 v65, v35 offset:20
.LBB59_24:                              ;   in Loop: Header=BB59_6 Depth=2
	s_or_b64 exec, exec, s[34:35]
	v_lshrrev_b64 v[38:39], v24, v[12:13]
	v_and_b32_e32 v35, 0xff, v38
	v_mul_u32_u24_e32 v39, 20, v35
	v_mad_u32_u24 v35, v35, 20, v109
	; wave barrier
	ds_read_b32 v66, v35 offset:20
	v_and_b32_e32 v35, 1, v38
	v_add_co_u32_e32 v37, vcc, -1, v35
	v_addc_co_u32_e64 v40, s[34:35], 0, -1, vcc
	v_cmp_ne_u32_e32 vcc, 0, v35
	v_xor_b32_e32 v37, vcc_lo, v37
	v_xor_b32_e32 v35, vcc_hi, v40
	v_and_b32_e32 v40, exec_lo, v37
	v_lshlrev_b32_e32 v37, 30, v38
	v_cmp_gt_i64_e32 vcc, 0, v[36:37]
	v_not_b32_e32 v37, v37
	v_ashrrev_i32_e32 v37, 31, v37
	v_xor_b32_e32 v67, vcc_hi, v37
	v_xor_b32_e32 v37, vcc_lo, v37
	v_and_b32_e32 v40, v40, v37
	v_lshlrev_b32_e32 v37, 29, v38
	v_cmp_gt_i64_e32 vcc, 0, v[36:37]
	v_not_b32_e32 v37, v37
	v_and_b32_e32 v35, exec_hi, v35
	v_ashrrev_i32_e32 v37, 31, v37
	v_and_b32_e32 v35, v35, v67
	v_xor_b32_e32 v67, vcc_hi, v37
	v_xor_b32_e32 v37, vcc_lo, v37
	v_and_b32_e32 v40, v40, v37
	v_lshlrev_b32_e32 v37, 28, v38
	v_cmp_gt_i64_e32 vcc, 0, v[36:37]
	v_not_b32_e32 v37, v37
	v_ashrrev_i32_e32 v37, 31, v37
	v_and_b32_e32 v35, v35, v67
	v_xor_b32_e32 v67, vcc_hi, v37
	v_xor_b32_e32 v37, vcc_lo, v37
	v_and_b32_e32 v40, v40, v37
	v_lshlrev_b32_e32 v37, 27, v38
	v_cmp_gt_i64_e32 vcc, 0, v[36:37]
	v_not_b32_e32 v37, v37
	;; [unrolled: 8-line block ×5, first 2 shown]
	v_ashrrev_i32_e32 v37, 31, v37
	v_xor_b32_e32 v38, vcc_hi, v37
	v_xor_b32_e32 v37, vcc_lo, v37
	v_and_b32_e32 v35, v35, v67
	v_and_b32_e32 v37, v40, v37
	;; [unrolled: 1-line block ×3, first 2 shown]
	v_mbcnt_lo_u32_b32 v35, v37, 0
	v_mbcnt_hi_u32_b32 v67, v38, v35
	v_cmp_ne_u64_e32 vcc, 0, v[37:38]
	v_cmp_eq_u32_e64 s[34:35], 0, v67
	s_and_b64 s[36:37], vcc, s[34:35]
	v_add_u32_e32 v68, v109, v39
	; wave barrier
	s_and_saveexec_b64 s[34:35], s[36:37]
	s_cbranch_execz .LBB59_26
; %bb.25:                               ;   in Loop: Header=BB59_6 Depth=2
	v_bcnt_u32_b32 v35, v37, 0
	v_bcnt_u32_b32 v35, v38, v35
	s_waitcnt lgkmcnt(0)
	v_add_u32_e32 v35, v66, v35
	ds_write_b32 v68, v35 offset:20
.LBB59_26:                              ;   in Loop: Header=BB59_6 Depth=2
	s_or_b64 exec, exec, s[34:35]
	v_lshrrev_b64 v[38:39], v24, v[10:11]
	v_and_b32_e32 v35, 0xff, v38
	v_mul_u32_u24_e32 v39, 20, v35
	v_mad_u32_u24 v35, v35, 20, v109
	; wave barrier
	ds_read_b32 v111, v35 offset:20
	v_and_b32_e32 v35, 1, v38
	v_add_co_u32_e32 v37, vcc, -1, v35
	v_addc_co_u32_e64 v40, s[34:35], 0, -1, vcc
	v_cmp_ne_u32_e32 vcc, 0, v35
	v_xor_b32_e32 v37, vcc_lo, v37
	v_xor_b32_e32 v35, vcc_hi, v40
	v_and_b32_e32 v40, exec_lo, v37
	v_lshlrev_b32_e32 v37, 30, v38
	v_cmp_gt_i64_e32 vcc, 0, v[36:37]
	v_not_b32_e32 v37, v37
	v_ashrrev_i32_e32 v37, 31, v37
	v_xor_b32_e32 v93, vcc_hi, v37
	v_xor_b32_e32 v37, vcc_lo, v37
	v_and_b32_e32 v40, v40, v37
	v_lshlrev_b32_e32 v37, 29, v38
	v_cmp_gt_i64_e32 vcc, 0, v[36:37]
	v_not_b32_e32 v37, v37
	v_and_b32_e32 v35, exec_hi, v35
	v_ashrrev_i32_e32 v37, 31, v37
	v_and_b32_e32 v35, v35, v93
	v_xor_b32_e32 v93, vcc_hi, v37
	v_xor_b32_e32 v37, vcc_lo, v37
	v_and_b32_e32 v40, v40, v37
	v_lshlrev_b32_e32 v37, 28, v38
	v_cmp_gt_i64_e32 vcc, 0, v[36:37]
	v_not_b32_e32 v37, v37
	v_ashrrev_i32_e32 v37, 31, v37
	v_and_b32_e32 v35, v35, v93
	v_xor_b32_e32 v93, vcc_hi, v37
	v_xor_b32_e32 v37, vcc_lo, v37
	v_and_b32_e32 v40, v40, v37
	v_lshlrev_b32_e32 v37, 27, v38
	v_cmp_gt_i64_e32 vcc, 0, v[36:37]
	v_not_b32_e32 v37, v37
	;; [unrolled: 8-line block ×5, first 2 shown]
	v_ashrrev_i32_e32 v37, 31, v37
	v_xor_b32_e32 v38, vcc_hi, v37
	v_xor_b32_e32 v37, vcc_lo, v37
	v_and_b32_e32 v35, v35, v93
	v_and_b32_e32 v37, v40, v37
	;; [unrolled: 1-line block ×3, first 2 shown]
	v_mbcnt_lo_u32_b32 v35, v37, 0
	v_mbcnt_hi_u32_b32 v112, v38, v35
	v_cmp_ne_u64_e32 vcc, 0, v[37:38]
	v_cmp_eq_u32_e64 s[34:35], 0, v112
	s_and_b64 s[36:37], vcc, s[34:35]
	v_add_u32_e32 v113, v109, v39
	; wave barrier
	s_and_saveexec_b64 s[34:35], s[36:37]
	s_cbranch_execz .LBB59_28
; %bb.27:                               ;   in Loop: Header=BB59_6 Depth=2
	v_bcnt_u32_b32 v35, v37, 0
	v_bcnt_u32_b32 v35, v38, v35
	s_waitcnt lgkmcnt(0)
	v_add_u32_e32 v35, v111, v35
	ds_write_b32 v113, v35 offset:20
.LBB59_28:                              ;   in Loop: Header=BB59_6 Depth=2
	s_or_b64 exec, exec, s[34:35]
	v_lshrrev_b64 v[38:39], v24, v[8:9]
	v_and_b32_e32 v35, 0xff, v38
	v_mul_u32_u24_e32 v39, 20, v35
	v_mad_u32_u24 v35, v35, 20, v109
	; wave barrier
	ds_read_b32 v114, v35 offset:20
	v_and_b32_e32 v35, 1, v38
	v_add_co_u32_e32 v37, vcc, -1, v35
	v_addc_co_u32_e64 v40, s[34:35], 0, -1, vcc
	v_cmp_ne_u32_e32 vcc, 0, v35
	v_xor_b32_e32 v37, vcc_lo, v37
	v_xor_b32_e32 v35, vcc_hi, v40
	v_and_b32_e32 v40, exec_lo, v37
	v_lshlrev_b32_e32 v37, 30, v38
	v_cmp_gt_i64_e32 vcc, 0, v[36:37]
	v_not_b32_e32 v37, v37
	v_ashrrev_i32_e32 v37, 31, v37
	v_xor_b32_e32 v93, vcc_hi, v37
	v_xor_b32_e32 v37, vcc_lo, v37
	v_and_b32_e32 v40, v40, v37
	v_lshlrev_b32_e32 v37, 29, v38
	v_cmp_gt_i64_e32 vcc, 0, v[36:37]
	v_not_b32_e32 v37, v37
	v_and_b32_e32 v35, exec_hi, v35
	v_ashrrev_i32_e32 v37, 31, v37
	v_and_b32_e32 v35, v35, v93
	v_xor_b32_e32 v93, vcc_hi, v37
	v_xor_b32_e32 v37, vcc_lo, v37
	v_and_b32_e32 v40, v40, v37
	v_lshlrev_b32_e32 v37, 28, v38
	v_cmp_gt_i64_e32 vcc, 0, v[36:37]
	v_not_b32_e32 v37, v37
	v_ashrrev_i32_e32 v37, 31, v37
	v_and_b32_e32 v35, v35, v93
	v_xor_b32_e32 v93, vcc_hi, v37
	v_xor_b32_e32 v37, vcc_lo, v37
	v_and_b32_e32 v40, v40, v37
	v_lshlrev_b32_e32 v37, 27, v38
	v_cmp_gt_i64_e32 vcc, 0, v[36:37]
	v_not_b32_e32 v37, v37
	;; [unrolled: 8-line block ×5, first 2 shown]
	v_ashrrev_i32_e32 v37, 31, v37
	v_xor_b32_e32 v38, vcc_hi, v37
	v_xor_b32_e32 v37, vcc_lo, v37
	v_and_b32_e32 v35, v35, v93
	v_and_b32_e32 v37, v40, v37
	;; [unrolled: 1-line block ×3, first 2 shown]
	v_mbcnt_lo_u32_b32 v35, v37, 0
	v_mbcnt_hi_u32_b32 v115, v38, v35
	v_cmp_ne_u64_e32 vcc, 0, v[37:38]
	v_cmp_eq_u32_e64 s[34:35], 0, v115
	s_and_b64 s[36:37], vcc, s[34:35]
	v_add_u32_e32 v116, v109, v39
	; wave barrier
	s_and_saveexec_b64 s[34:35], s[36:37]
	s_cbranch_execz .LBB59_30
; %bb.29:                               ;   in Loop: Header=BB59_6 Depth=2
	v_bcnt_u32_b32 v35, v37, 0
	v_bcnt_u32_b32 v35, v38, v35
	s_waitcnt lgkmcnt(0)
	v_add_u32_e32 v35, v114, v35
	ds_write_b32 v116, v35 offset:20
.LBB59_30:                              ;   in Loop: Header=BB59_6 Depth=2
	s_or_b64 exec, exec, s[34:35]
	v_lshrrev_b64 v[38:39], v24, v[6:7]
	v_and_b32_e32 v35, 0xff, v38
	v_mul_u32_u24_e32 v39, 20, v35
	v_mad_u32_u24 v35, v35, 20, v109
	; wave barrier
	ds_read_b32 v117, v35 offset:20
	v_and_b32_e32 v35, 1, v38
	v_add_co_u32_e32 v37, vcc, -1, v35
	v_addc_co_u32_e64 v40, s[34:35], 0, -1, vcc
	v_cmp_ne_u32_e32 vcc, 0, v35
	v_xor_b32_e32 v37, vcc_lo, v37
	v_xor_b32_e32 v35, vcc_hi, v40
	v_and_b32_e32 v40, exec_lo, v37
	v_lshlrev_b32_e32 v37, 30, v38
	v_cmp_gt_i64_e32 vcc, 0, v[36:37]
	v_not_b32_e32 v37, v37
	v_ashrrev_i32_e32 v37, 31, v37
	v_xor_b32_e32 v93, vcc_hi, v37
	v_xor_b32_e32 v37, vcc_lo, v37
	v_and_b32_e32 v40, v40, v37
	v_lshlrev_b32_e32 v37, 29, v38
	v_cmp_gt_i64_e32 vcc, 0, v[36:37]
	v_not_b32_e32 v37, v37
	v_and_b32_e32 v35, exec_hi, v35
	v_ashrrev_i32_e32 v37, 31, v37
	v_and_b32_e32 v35, v35, v93
	v_xor_b32_e32 v93, vcc_hi, v37
	v_xor_b32_e32 v37, vcc_lo, v37
	v_and_b32_e32 v40, v40, v37
	v_lshlrev_b32_e32 v37, 28, v38
	v_cmp_gt_i64_e32 vcc, 0, v[36:37]
	v_not_b32_e32 v37, v37
	v_ashrrev_i32_e32 v37, 31, v37
	v_and_b32_e32 v35, v35, v93
	v_xor_b32_e32 v93, vcc_hi, v37
	v_xor_b32_e32 v37, vcc_lo, v37
	v_and_b32_e32 v40, v40, v37
	v_lshlrev_b32_e32 v37, 27, v38
	v_cmp_gt_i64_e32 vcc, 0, v[36:37]
	v_not_b32_e32 v37, v37
	v_ashrrev_i32_e32 v37, 31, v37
	v_and_b32_e32 v35, v35, v93
	v_xor_b32_e32 v93, vcc_hi, v37
	v_xor_b32_e32 v37, vcc_lo, v37
	v_and_b32_e32 v40, v40, v37
	v_lshlrev_b32_e32 v37, 26, v38
	v_cmp_gt_i64_e32 vcc, 0, v[36:37]
	v_not_b32_e32 v37, v37
	v_ashrrev_i32_e32 v37, 31, v37
	v_and_b32_e32 v35, v35, v93
	v_xor_b32_e32 v93, vcc_hi, v37
	v_xor_b32_e32 v37, vcc_lo, v37
	v_and_b32_e32 v40, v40, v37
	v_lshlrev_b32_e32 v37, 25, v38
	v_cmp_gt_i64_e32 vcc, 0, v[36:37]
	v_not_b32_e32 v37, v37
	v_ashrrev_i32_e32 v37, 31, v37
	v_and_b32_e32 v35, v35, v93
	v_xor_b32_e32 v93, vcc_hi, v37
	v_xor_b32_e32 v37, vcc_lo, v37
	v_and_b32_e32 v40, v40, v37
	v_lshlrev_b32_e32 v37, 24, v38
	v_cmp_gt_i64_e32 vcc, 0, v[36:37]
	v_not_b32_e32 v37, v37
	v_ashrrev_i32_e32 v37, 31, v37
	v_xor_b32_e32 v38, vcc_hi, v37
	v_xor_b32_e32 v37, vcc_lo, v37
	v_and_b32_e32 v35, v35, v93
	v_and_b32_e32 v37, v40, v37
	;; [unrolled: 1-line block ×3, first 2 shown]
	v_mbcnt_lo_u32_b32 v35, v37, 0
	v_mbcnt_hi_u32_b32 v118, v38, v35
	v_cmp_ne_u64_e32 vcc, 0, v[37:38]
	v_cmp_eq_u32_e64 s[34:35], 0, v118
	s_and_b64 s[36:37], vcc, s[34:35]
	v_add_u32_e32 v119, v109, v39
	; wave barrier
	s_and_saveexec_b64 s[34:35], s[36:37]
	s_cbranch_execz .LBB59_32
; %bb.31:                               ;   in Loop: Header=BB59_6 Depth=2
	v_bcnt_u32_b32 v35, v37, 0
	v_bcnt_u32_b32 v35, v38, v35
	s_waitcnt lgkmcnt(0)
	v_add_u32_e32 v35, v117, v35
	ds_write_b32 v119, v35 offset:20
.LBB59_32:                              ;   in Loop: Header=BB59_6 Depth=2
	s_or_b64 exec, exec, s[34:35]
	v_lshrrev_b64 v[38:39], v24, v[4:5]
	v_and_b32_e32 v35, 0xff, v38
	v_mul_u32_u24_e32 v39, 20, v35
	v_mad_u32_u24 v35, v35, 20, v109
	; wave barrier
	ds_read_b32 v120, v35 offset:20
	v_and_b32_e32 v35, 1, v38
	v_add_co_u32_e32 v37, vcc, -1, v35
	v_addc_co_u32_e64 v40, s[34:35], 0, -1, vcc
	v_cmp_ne_u32_e32 vcc, 0, v35
	v_xor_b32_e32 v37, vcc_lo, v37
	v_xor_b32_e32 v35, vcc_hi, v40
	v_and_b32_e32 v40, exec_lo, v37
	v_lshlrev_b32_e32 v37, 30, v38
	v_cmp_gt_i64_e32 vcc, 0, v[36:37]
	v_not_b32_e32 v37, v37
	v_ashrrev_i32_e32 v37, 31, v37
	v_xor_b32_e32 v93, vcc_hi, v37
	v_xor_b32_e32 v37, vcc_lo, v37
	v_and_b32_e32 v40, v40, v37
	v_lshlrev_b32_e32 v37, 29, v38
	v_cmp_gt_i64_e32 vcc, 0, v[36:37]
	v_not_b32_e32 v37, v37
	v_and_b32_e32 v35, exec_hi, v35
	v_ashrrev_i32_e32 v37, 31, v37
	v_and_b32_e32 v35, v35, v93
	v_xor_b32_e32 v93, vcc_hi, v37
	v_xor_b32_e32 v37, vcc_lo, v37
	v_and_b32_e32 v40, v40, v37
	v_lshlrev_b32_e32 v37, 28, v38
	v_cmp_gt_i64_e32 vcc, 0, v[36:37]
	v_not_b32_e32 v37, v37
	v_ashrrev_i32_e32 v37, 31, v37
	v_and_b32_e32 v35, v35, v93
	v_xor_b32_e32 v93, vcc_hi, v37
	v_xor_b32_e32 v37, vcc_lo, v37
	v_and_b32_e32 v40, v40, v37
	v_lshlrev_b32_e32 v37, 27, v38
	v_cmp_gt_i64_e32 vcc, 0, v[36:37]
	v_not_b32_e32 v37, v37
	;; [unrolled: 8-line block ×5, first 2 shown]
	v_ashrrev_i32_e32 v37, 31, v37
	v_xor_b32_e32 v38, vcc_hi, v37
	v_xor_b32_e32 v37, vcc_lo, v37
	v_and_b32_e32 v35, v35, v93
	v_and_b32_e32 v37, v40, v37
	;; [unrolled: 1-line block ×3, first 2 shown]
	v_mbcnt_lo_u32_b32 v35, v37, 0
	v_mbcnt_hi_u32_b32 v121, v38, v35
	v_cmp_ne_u64_e32 vcc, 0, v[37:38]
	v_cmp_eq_u32_e64 s[34:35], 0, v121
	s_and_b64 s[36:37], vcc, s[34:35]
	v_add_u32_e32 v122, v109, v39
	; wave barrier
	s_and_saveexec_b64 s[34:35], s[36:37]
	s_cbranch_execz .LBB59_34
; %bb.33:                               ;   in Loop: Header=BB59_6 Depth=2
	v_bcnt_u32_b32 v35, v37, 0
	v_bcnt_u32_b32 v35, v38, v35
	s_waitcnt lgkmcnt(0)
	v_add_u32_e32 v35, v120, v35
	ds_write_b32 v122, v35 offset:20
.LBB59_34:                              ;   in Loop: Header=BB59_6 Depth=2
	s_or_b64 exec, exec, s[34:35]
	v_lshrrev_b64 v[38:39], v24, v[2:3]
	v_and_b32_e32 v35, 0xff, v38
	v_mul_u32_u24_e32 v39, 20, v35
	v_mad_u32_u24 v35, v35, 20, v109
	; wave barrier
	ds_read_b32 v123, v35 offset:20
	v_and_b32_e32 v35, 1, v38
	v_add_co_u32_e32 v37, vcc, -1, v35
	v_addc_co_u32_e64 v40, s[34:35], 0, -1, vcc
	v_cmp_ne_u32_e32 vcc, 0, v35
	v_xor_b32_e32 v37, vcc_lo, v37
	v_xor_b32_e32 v35, vcc_hi, v40
	v_and_b32_e32 v40, exec_lo, v37
	v_lshlrev_b32_e32 v37, 30, v38
	v_cmp_gt_i64_e32 vcc, 0, v[36:37]
	v_not_b32_e32 v37, v37
	v_ashrrev_i32_e32 v37, 31, v37
	v_xor_b32_e32 v93, vcc_hi, v37
	v_xor_b32_e32 v37, vcc_lo, v37
	v_and_b32_e32 v40, v40, v37
	v_lshlrev_b32_e32 v37, 29, v38
	v_cmp_gt_i64_e32 vcc, 0, v[36:37]
	v_not_b32_e32 v37, v37
	v_and_b32_e32 v35, exec_hi, v35
	v_ashrrev_i32_e32 v37, 31, v37
	v_and_b32_e32 v35, v35, v93
	v_xor_b32_e32 v93, vcc_hi, v37
	v_xor_b32_e32 v37, vcc_lo, v37
	v_and_b32_e32 v40, v40, v37
	v_lshlrev_b32_e32 v37, 28, v38
	v_cmp_gt_i64_e32 vcc, 0, v[36:37]
	v_not_b32_e32 v37, v37
	v_ashrrev_i32_e32 v37, 31, v37
	v_and_b32_e32 v35, v35, v93
	v_xor_b32_e32 v93, vcc_hi, v37
	v_xor_b32_e32 v37, vcc_lo, v37
	v_and_b32_e32 v40, v40, v37
	v_lshlrev_b32_e32 v37, 27, v38
	v_cmp_gt_i64_e32 vcc, 0, v[36:37]
	v_not_b32_e32 v37, v37
	;; [unrolled: 8-line block ×5, first 2 shown]
	v_ashrrev_i32_e32 v37, 31, v37
	v_xor_b32_e32 v38, vcc_hi, v37
	v_xor_b32_e32 v37, vcc_lo, v37
	v_and_b32_e32 v35, v35, v93
	v_and_b32_e32 v37, v40, v37
	;; [unrolled: 1-line block ×3, first 2 shown]
	v_mbcnt_lo_u32_b32 v35, v37, 0
	v_mbcnt_hi_u32_b32 v124, v38, v35
	v_cmp_ne_u64_e32 vcc, 0, v[37:38]
	v_cmp_eq_u32_e64 s[34:35], 0, v124
	s_and_b64 s[36:37], vcc, s[34:35]
	v_add_u32_e32 v125, v109, v39
	; wave barrier
	s_and_saveexec_b64 s[34:35], s[36:37]
	s_cbranch_execz .LBB59_36
; %bb.35:                               ;   in Loop: Header=BB59_6 Depth=2
	v_bcnt_u32_b32 v35, v37, 0
	v_bcnt_u32_b32 v35, v38, v35
	s_waitcnt lgkmcnt(0)
	v_add_u32_e32 v35, v123, v35
	ds_write_b32 v125, v35 offset:20
.LBB59_36:                              ;   in Loop: Header=BB59_6 Depth=2
	s_or_b64 exec, exec, s[34:35]
	v_lshrrev_b64 v[38:39], v24, v[0:1]
	v_and_b32_e32 v35, 0xff, v38
	v_mul_u32_u24_e32 v39, 20, v35
	v_mad_u32_u24 v35, v35, 20, v109
	; wave barrier
	ds_read_b32 v126, v35 offset:20
	v_and_b32_e32 v35, 1, v38
	v_add_co_u32_e32 v37, vcc, -1, v35
	v_addc_co_u32_e64 v40, s[34:35], 0, -1, vcc
	v_cmp_ne_u32_e32 vcc, 0, v35
	v_xor_b32_e32 v37, vcc_lo, v37
	v_xor_b32_e32 v35, vcc_hi, v40
	v_and_b32_e32 v40, exec_lo, v37
	v_lshlrev_b32_e32 v37, 30, v38
	v_cmp_gt_i64_e32 vcc, 0, v[36:37]
	v_not_b32_e32 v37, v37
	v_ashrrev_i32_e32 v37, 31, v37
	v_xor_b32_e32 v93, vcc_hi, v37
	v_xor_b32_e32 v37, vcc_lo, v37
	v_and_b32_e32 v40, v40, v37
	v_lshlrev_b32_e32 v37, 29, v38
	v_cmp_gt_i64_e32 vcc, 0, v[36:37]
	v_not_b32_e32 v37, v37
	v_and_b32_e32 v35, exec_hi, v35
	v_ashrrev_i32_e32 v37, 31, v37
	v_and_b32_e32 v35, v35, v93
	v_xor_b32_e32 v93, vcc_hi, v37
	v_xor_b32_e32 v37, vcc_lo, v37
	v_and_b32_e32 v40, v40, v37
	v_lshlrev_b32_e32 v37, 28, v38
	v_cmp_gt_i64_e32 vcc, 0, v[36:37]
	v_not_b32_e32 v37, v37
	v_ashrrev_i32_e32 v37, 31, v37
	v_and_b32_e32 v35, v35, v93
	v_xor_b32_e32 v93, vcc_hi, v37
	v_xor_b32_e32 v37, vcc_lo, v37
	v_and_b32_e32 v40, v40, v37
	v_lshlrev_b32_e32 v37, 27, v38
	v_cmp_gt_i64_e32 vcc, 0, v[36:37]
	v_not_b32_e32 v37, v37
	;; [unrolled: 8-line block ×5, first 2 shown]
	v_ashrrev_i32_e32 v37, 31, v37
	v_xor_b32_e32 v38, vcc_hi, v37
	v_xor_b32_e32 v37, vcc_lo, v37
	v_and_b32_e32 v35, v35, v93
	v_and_b32_e32 v37, v40, v37
	;; [unrolled: 1-line block ×3, first 2 shown]
	v_mbcnt_lo_u32_b32 v35, v37, 0
	v_mbcnt_hi_u32_b32 v100, v38, v35
	v_cmp_ne_u64_e32 vcc, 0, v[37:38]
	v_cmp_eq_u32_e64 s[34:35], 0, v100
	s_and_b64 s[36:37], vcc, s[34:35]
	v_add_u32_e32 v101, v109, v39
	; wave barrier
	s_and_saveexec_b64 s[34:35], s[36:37]
	s_cbranch_execz .LBB59_38
; %bb.37:                               ;   in Loop: Header=BB59_6 Depth=2
	v_bcnt_u32_b32 v35, v37, 0
	v_bcnt_u32_b32 v35, v38, v35
	s_waitcnt lgkmcnt(0)
	v_add_u32_e32 v35, v126, v35
	ds_write_b32 v101, v35 offset:20
.LBB59_38:                              ;   in Loop: Header=BB59_6 Depth=2
	s_or_b64 exec, exec, s[34:35]
	; wave barrier
	s_waitcnt lgkmcnt(0)
	s_barrier
	ds_read2_b32 v[39:40], v69 offset0:5 offset1:6
	ds_read2_b32 v[37:38], v69 offset0:7 offset1:8
	s_waitcnt lgkmcnt(1)
	v_add_u32_e32 v35, v40, v39
	s_waitcnt lgkmcnt(0)
	v_add3_u32 v35, v35, v37, v38
	s_nop 1
	v_mov_b32_dpp v38, v35 row_shr:1 row_mask:0xf bank_mask:0xf
	v_cndmask_b32_e64 v38, v38, 0, s[2:3]
	v_add_u32_e32 v35, v38, v35
	s_nop 1
	v_mov_b32_dpp v38, v35 row_shr:2 row_mask:0xf bank_mask:0xf
	v_cndmask_b32_e64 v38, 0, v38, s[4:5]
	v_add_u32_e32 v35, v35, v38
	;; [unrolled: 4-line block ×4, first 2 shown]
	s_nop 1
	v_mov_b32_dpp v38, v35 row_bcast:15 row_mask:0xf bank_mask:0xf
	v_cndmask_b32_e64 v38, v38, 0, s[10:11]
	v_add_u32_e32 v35, v35, v38
	s_nop 1
	v_mov_b32_dpp v38, v35 row_bcast:31 row_mask:0xf bank_mask:0xf
	v_cndmask_b32_e64 v38, 0, v38, s[12:13]
	v_add_u32_e32 v35, v35, v38
	s_and_saveexec_b64 s[34:35], s[14:15]
; %bb.39:                               ;   in Loop: Header=BB59_6 Depth=2
	ds_write_b32 v89, v35
; %bb.40:                               ;   in Loop: Header=BB59_6 Depth=2
	s_or_b64 exec, exec, s[34:35]
	s_waitcnt lgkmcnt(0)
	s_barrier
	s_and_saveexec_b64 s[34:35], s[16:17]
	s_cbranch_execz .LBB59_42
; %bb.41:                               ;   in Loop: Header=BB59_6 Depth=2
	ds_read_b32 v38, v90
	s_waitcnt lgkmcnt(0)
	s_nop 0
	v_mov_b32_dpp v93, v38 row_shr:1 row_mask:0xf bank_mask:0xf
	v_cndmask_b32_e64 v93, v93, 0, s[26:27]
	v_add_u32_e32 v38, v93, v38
	s_nop 1
	v_mov_b32_dpp v93, v38 row_shr:2 row_mask:0xf bank_mask:0xf
	v_cndmask_b32_e64 v93, 0, v93, s[28:29]
	v_add_u32_e32 v38, v38, v93
	;; [unrolled: 4-line block ×3, first 2 shown]
	ds_write_b32 v90, v38
.LBB59_42:                              ;   in Loop: Header=BB59_6 Depth=2
	s_or_b64 exec, exec, s[34:35]
	v_mov_b32_e32 v38, 0
	s_waitcnt lgkmcnt(0)
	s_barrier
	s_and_saveexec_b64 s[34:35], s[18:19]
; %bb.43:                               ;   in Loop: Header=BB59_6 Depth=2
	v_add_u32_e32 v38, -4, v89
	ds_read_b32 v38, v38
; %bb.44:                               ;   in Loop: Header=BB59_6 Depth=2
	s_or_b64 exec, exec, s[34:35]
	s_waitcnt lgkmcnt(0)
	v_add_u32_e32 v35, v38, v35
	ds_bpermute_b32 v35, v88, v35
	v_cmp_lt_u32_e32 vcc, 55, v24
	s_and_b64 vcc, exec, vcc
	s_mov_b64 s[34:35], -1
	s_waitcnt lgkmcnt(0)
	v_cndmask_b32_e64 v35, v35, v38, s[20:21]
	v_cndmask_b32_e64 v35, v35, 0, s[22:23]
	v_add_u32_e32 v38, v35, v39
	v_add_u32_e32 v39, v38, v40
	ds_write2_b32 v69, v35, v38 offset0:5 offset1:6
	v_add_u32_e32 v35, v39, v37
	ds_write2_b32 v69, v39, v35 offset0:7 offset1:8
	s_waitcnt lgkmcnt(0)
	s_barrier
	ds_read_b32 v35, v41 offset:20
	ds_read_b32 v37, v44 offset:20
	s_waitcnt lgkmcnt(1)
	v_add_u32_e32 v95, v35, v34
	ds_read_b32 v34, v47 offset:20
	ds_read_b32 v35, v50 offset:20
	;; [unrolled: 1-line block ×3, first 2 shown]
	s_waitcnt lgkmcnt(3)
	v_add3_u32 v99, v43, v42, v37
	ds_read_b32 v37, v56 offset:20
	s_waitcnt lgkmcnt(3)
	v_add3_u32 v98, v46, v45, v34
	ds_read_b32 v34, v59 offset:20
	s_waitcnt lgkmcnt(3)
	v_add3_u32 v97, v49, v48, v35
	s_waitcnt lgkmcnt(2)
	v_add3_u32 v93, v52, v51, v38
	;; [unrolled: 2-line block ×3, first 2 shown]
	ds_read_b32 v35, v62 offset:20
	ds_read_b32 v37, v65 offset:20
	ds_read_b32 v38, v68 offset:20
	s_waitcnt lgkmcnt(3)
	v_add3_u32 v96, v58, v57, v34
	ds_read_b32 v34, v113 offset:20
	s_waitcnt lgkmcnt(3)
	v_add3_u32 v94, v61, v60, v35
	s_waitcnt lgkmcnt(2)
	v_add3_u32 v35, v64, v63, v37
	;; [unrolled: 2-line block ×3, first 2 shown]
	ds_read_b32 v37, v116 offset:20
	s_waitcnt lgkmcnt(1)
	v_add3_u32 v113, v112, v111, v34
	ds_read_b32 v34, v119 offset:20
	ds_read_b32 v38, v122 offset:20
	;; [unrolled: 1-line block ×4, first 2 shown]
                                        ; implicit-def: $vgpr41_vgpr42
                                        ; implicit-def: $vgpr43_vgpr44
                                        ; implicit-def: $vgpr45_vgpr46
                                        ; implicit-def: $vgpr47_vgpr48
                                        ; implicit-def: $vgpr49_vgpr50
                                        ; implicit-def: $vgpr51_vgpr52
                                        ; implicit-def: $vgpr53_vgpr54
                                        ; implicit-def: $vgpr55_vgpr56
                                        ; implicit-def: $vgpr57_vgpr58
                                        ; implicit-def: $vgpr59_vgpr60
                                        ; implicit-def: $vgpr61_vgpr62
                                        ; implicit-def: $vgpr63_vgpr64
                                        ; implicit-def: $vgpr65_vgpr66
                                        ; implicit-def: $vgpr67_vgpr68
	s_waitcnt lgkmcnt(4)
	v_add3_u32 v115, v115, v114, v37
	s_waitcnt lgkmcnt(3)
	v_add3_u32 v114, v118, v117, v34
	;; [unrolled: 2-line block ×5, first 2 shown]
                                        ; implicit-def: $vgpr37_vgpr38
                                        ; implicit-def: $vgpr39_vgpr40
	s_cbranch_vccnz .LBB59_5
; %bb.45:                               ;   in Loop: Header=BB59_6 Depth=2
	v_lshrrev_b32_e32 v37, 2, v95
	v_and_b32_e32 v37, 0x3ffffff8, v37
	v_lshl_add_u32 v37, v95, 3, v37
	s_barrier
	ds_write_b64 v37, v[32:33]
	v_lshrrev_b32_e32 v37, 2, v99
	v_and_b32_e32 v37, 0x3ffffff8, v37
	v_lshl_add_u32 v37, v99, 3, v37
	ds_write_b64 v37, v[30:31]
	v_lshrrev_b32_e32 v37, 2, v98
	v_and_b32_e32 v37, 0x3ffffff8, v37
	v_lshl_add_u32 v37, v98, 3, v37
	;; [unrolled: 4-line block ×15, first 2 shown]
	ds_write_b64 v37, v[0:1]
	s_waitcnt lgkmcnt(0)
	s_barrier
	ds_read_b64 v[37:38], v71
	ds_read_b64 v[39:40], v72 offset:512
	ds_read_b64 v[41:42], v73 offset:1024
	;; [unrolled: 1-line block ×15, first 2 shown]
	v_add_co_u32_e32 v24, vcc, 8, v24
	v_addc_co_u32_e32 v25, vcc, 0, v25, vcc
	s_mov_b64 s[34:35], 0
	s_waitcnt lgkmcnt(0)
	s_barrier
	s_branch .LBB59_5
.LBB59_46:                              ;   in Loop: Header=BB59_2 Depth=1
	v_lshrrev_b32_e32 v24, 2, v95
	v_and_b32_e32 v24, 0x3ffffff8, v24
	v_lshl_add_u32 v24, v95, 3, v24
	s_barrier
	ds_write_b64 v24, v[32:33]
	v_lshrrev_b32_e32 v24, 2, v99
	v_and_b32_e32 v24, 0x3ffffff8, v24
	v_lshl_add_u32 v24, v99, 3, v24
	ds_write_b64 v24, v[30:31]
	v_lshrrev_b32_e32 v24, 2, v98
	v_and_b32_e32 v24, 0x3ffffff8, v24
	v_lshl_add_u32 v24, v98, 3, v24
	;; [unrolled: 4-line block ×15, first 2 shown]
	ds_write_b64 v2, v[0:1]
	s_waitcnt lgkmcnt(0)
	s_barrier
	ds_read2_b64 v[19:22], v91 offset1:1
	ds_read2_b64 v[11:14], v91 offset0:2 offset1:3
	ds_read2_b64 v[7:10], v91 offset0:4 offset1:5
	;; [unrolled: 1-line block ×7, first 2 shown]
	s_waitcnt lgkmcnt(0)
	s_barrier
	s_and_saveexec_b64 s[34:35], s[0:1]
; %bb.47:                               ;   in Loop: Header=BB59_2 Depth=1
	v_mov_b32_e32 v0, 0x1400
	ds_write2st64_b32 v110, v0, v0 offset0:20 offset1:25
; %bb.48:                               ;   in Loop: Header=BB59_2 Depth=1
	s_or_b64 exec, exec, s[34:35]
	v_cmp_ne_u32_e32 vcc, v15, v17
	v_lshlrev_b32_e32 v1, 2, v15
	s_waitcnt lgkmcnt(0)
	s_barrier
	ds_write_b64 v92, v[17:18]
	s_and_saveexec_b64 s[34:35], vcc
	s_cbranch_execz .LBB59_50
; %bb.49:                               ;   in Loop: Header=BB59_2 Depth=1
	v_lshlrev_b32_e32 v0, 2, v17
	v_or_b32_e32 v2, 15, v69
	ds_write_b32 v0, v2 offset:5120
	ds_write_b32 v1, v2 offset:6400
.LBB59_50:                              ;   in Loop: Header=BB59_2 Depth=1
	s_or_b64 exec, exec, s[34:35]
	v_cmp_ne_u32_e32 vcc, v15, v25
	v_lshlrev_b32_e32 v2, 2, v25
	v_mov_b32_e32 v0, v15
	s_and_saveexec_b64 s[34:35], vcc
	s_cbranch_execz .LBB59_52
; %bb.51:                               ;   in Loop: Header=BB59_2 Depth=1
	v_or_b32_e32 v0, 14, v69
	ds_write_b32 v1, v0 offset:5120
	ds_write_b32 v2, v0 offset:6400
	v_mov_b32_e32 v0, v25
.LBB59_52:                              ;   in Loop: Header=BB59_2 Depth=1
	s_or_b64 exec, exec, s[34:35]
	v_cmp_ne_u32_e32 vcc, v0, v23
	v_lshlrev_b32_e32 v1, 2, v23
	s_and_saveexec_b64 s[34:35], vcc
	s_cbranch_execz .LBB59_54
; %bb.53:                               ;   in Loop: Header=BB59_2 Depth=1
	v_or_b32_e32 v0, 13, v69
	ds_write_b32 v2, v0 offset:5120
	ds_write_b32 v1, v0 offset:6400
	v_mov_b32_e32 v0, v23
.LBB59_54:                              ;   in Loop: Header=BB59_2 Depth=1
	s_or_b64 exec, exec, s[34:35]
	v_cmp_ne_u32_e32 vcc, v0, v29
	v_lshlrev_b32_e32 v2, 2, v29
	;; [unrolled: 11-line block ×8, first 2 shown]
	s_and_saveexec_b64 s[34:35], vcc
	s_cbranch_execz .LBB59_68
; %bb.67:                               ;   in Loop: Header=BB59_2 Depth=1
	v_mov_b32_e32 v0, v9
	ds_write_b32 v1, v102 offset:5120
	ds_write_b32 v2, v102 offset:6400
.LBB59_68:                              ;   in Loop: Header=BB59_2 Depth=1
	s_or_b64 exec, exec, s[34:35]
	v_cmp_ne_u32_e32 vcc, v0, v7
	v_lshlrev_b32_e32 v1, 2, v7
	s_and_saveexec_b64 s[34:35], vcc
	s_cbranch_execz .LBB59_70
; %bb.69:                               ;   in Loop: Header=BB59_2 Depth=1
	v_mov_b32_e32 v0, v7
	ds_write_b32 v2, v103 offset:5120
	ds_write_b32 v1, v103 offset:6400
.LBB59_70:                              ;   in Loop: Header=BB59_2 Depth=1
	s_or_b64 exec, exec, s[34:35]
	v_cmp_ne_u32_e32 vcc, v0, v13
	v_lshlrev_b32_e32 v2, 2, v13
	;; [unrolled: 10-line block ×5, first 2 shown]
	s_and_saveexec_b64 s[34:35], vcc
	s_cbranch_execz .LBB59_78
; %bb.77:                               ;   in Loop: Header=BB59_2 Depth=1
	ds_write_b32 v2, v107 offset:5120
	ds_write_b32 v0, v107 offset:6400
.LBB59_78:                              ;   in Loop: Header=BB59_2 Depth=1
	s_or_b64 exec, exec, s[34:35]
	s_waitcnt lgkmcnt(0)
	s_barrier
	s_and_saveexec_b64 s[34:35], s[24:25]
	s_cbranch_execz .LBB59_81
; %bb.79:                               ;   in Loop: Header=BB59_2 Depth=1
	v_add_u32_e32 v1, -8, v92
	ds_read_b32 v1, v1
	s_waitcnt lgkmcnt(0)
	v_cmp_ne_u32_e32 vcc, v1, v19
	s_and_b64 exec, exec, vcc
	s_cbranch_execz .LBB59_81
; %bb.80:                               ;   in Loop: Header=BB59_2 Depth=1
	ds_write_b32 v0, v69 offset:5120
	v_add_u32_e32 v1, -8, v92
	ds_read_b32 v1, v1
	s_waitcnt lgkmcnt(0)
	v_lshlrev_b32_e32 v1, 2, v1
	ds_write_b32 v1, v69 offset:6400
.LBB59_81:                              ;   in Loop: Header=BB59_2 Depth=1
	s_or_b64 exec, exec, s[34:35]
	s_waitcnt lgkmcnt(0)
	s_barrier
	s_and_saveexec_b64 s[34:35], s[22:23]
; %bb.82:                               ;   in Loop: Header=BB59_2 Depth=1
	ds_write_b32 v0, v36 offset:5120
; %bb.83:                               ;   in Loop: Header=BB59_2 Depth=1
	s_or_b64 exec, exec, s[34:35]
	s_waitcnt lgkmcnt(0)
	s_barrier
	s_and_saveexec_b64 s[34:35], s[0:1]
	s_cbranch_execz .LBB59_1
; %bb.84:                               ;   in Loop: Header=BB59_2 Depth=1
	ds_read2st64_b32 v[0:1], v110 offset0:20 offset1:25
	ds_read_b64 v[37:38], v87
	s_waitcnt lgkmcnt(1)
	v_sub_u32_e32 v0, v1, v0
	s_waitcnt lgkmcnt(0)
	v_add_co_u32_e32 v0, vcc, v37, v0
	v_addc_co_u32_e32 v1, vcc, 0, v38, vcc
	ds_write_b64 v87, v[0:1]
	s_branch .LBB59_1
.LBB59_85:
	s_and_saveexec_b64 s[2:3], s[0:1]
	s_cbranch_execz .LBB59_87
; %bb.86:
	buffer_load_dword v0, off, s[40:43], 0  ; 4-byte Folded Reload
	buffer_load_dword v1, off, s[40:43], 0 offset:4 ; 4-byte Folded Reload
	s_waitcnt vmcnt(0)
	v_mov_b32_e32 v1, 0
	ds_read_b64 v[2:3], v87
	v_mov_b32_e32 v4, s39
	v_lshlrev_b64 v[0:1], 3, v[0:1]
	v_add_co_u32_e32 v0, vcc, s38, v0
	v_addc_co_u32_e32 v1, vcc, v4, v1, vcc
	s_waitcnt lgkmcnt(0)
	global_store_dwordx2 v[0:1], v[2:3], off
.LBB59_87:
	s_endpgm
	.section	.rodata,"a",@progbits
	.p2align	6, 0x0
	.amdhsa_kernel _Z6kernelI9histogramILN6hipcub23BlockHistogramAlgorithmE1EEyLj320ELj16ELj320ELj100EEvPKT0_PS4_
		.amdhsa_group_segment_fixed_size 44800
		.amdhsa_private_segment_fixed_size 12
		.amdhsa_kernarg_size 272
		.amdhsa_user_sgpr_count 6
		.amdhsa_user_sgpr_private_segment_buffer 1
		.amdhsa_user_sgpr_dispatch_ptr 0
		.amdhsa_user_sgpr_queue_ptr 0
		.amdhsa_user_sgpr_kernarg_segment_ptr 1
		.amdhsa_user_sgpr_dispatch_id 0
		.amdhsa_user_sgpr_flat_scratch_init 0
		.amdhsa_user_sgpr_private_segment_size 0
		.amdhsa_uses_dynamic_stack 0
		.amdhsa_system_sgpr_private_segment_wavefront_offset 1
		.amdhsa_system_sgpr_workgroup_id_x 1
		.amdhsa_system_sgpr_workgroup_id_y 0
		.amdhsa_system_sgpr_workgroup_id_z 0
		.amdhsa_system_sgpr_workgroup_info 0
		.amdhsa_system_vgpr_workitem_id 2
		.amdhsa_next_free_vgpr 128
		.amdhsa_next_free_sgpr 98
		.amdhsa_reserve_vcc 1
		.amdhsa_reserve_flat_scratch 0
		.amdhsa_float_round_mode_32 0
		.amdhsa_float_round_mode_16_64 0
		.amdhsa_float_denorm_mode_32 3
		.amdhsa_float_denorm_mode_16_64 3
		.amdhsa_dx10_clamp 1
		.amdhsa_ieee_mode 1
		.amdhsa_fp16_overflow 0
		.amdhsa_exception_fp_ieee_invalid_op 0
		.amdhsa_exception_fp_denorm_src 0
		.amdhsa_exception_fp_ieee_div_zero 0
		.amdhsa_exception_fp_ieee_overflow 0
		.amdhsa_exception_fp_ieee_underflow 0
		.amdhsa_exception_fp_ieee_inexact 0
		.amdhsa_exception_int_div_zero 0
	.end_amdhsa_kernel
	.section	.text._Z6kernelI9histogramILN6hipcub23BlockHistogramAlgorithmE1EEyLj320ELj16ELj320ELj100EEvPKT0_PS4_,"axG",@progbits,_Z6kernelI9histogramILN6hipcub23BlockHistogramAlgorithmE1EEyLj320ELj16ELj320ELj100EEvPKT0_PS4_,comdat
.Lfunc_end59:
	.size	_Z6kernelI9histogramILN6hipcub23BlockHistogramAlgorithmE1EEyLj320ELj16ELj320ELj100EEvPKT0_PS4_, .Lfunc_end59-_Z6kernelI9histogramILN6hipcub23BlockHistogramAlgorithmE1EEyLj320ELj16ELj320ELj100EEvPKT0_PS4_
                                        ; -- End function
	.set _Z6kernelI9histogramILN6hipcub23BlockHistogramAlgorithmE1EEyLj320ELj16ELj320ELj100EEvPKT0_PS4_.num_vgpr, 128
	.set _Z6kernelI9histogramILN6hipcub23BlockHistogramAlgorithmE1EEyLj320ELj16ELj320ELj100EEvPKT0_PS4_.num_agpr, 0
	.set _Z6kernelI9histogramILN6hipcub23BlockHistogramAlgorithmE1EEyLj320ELj16ELj320ELj100EEvPKT0_PS4_.numbered_sgpr, 44
	.set _Z6kernelI9histogramILN6hipcub23BlockHistogramAlgorithmE1EEyLj320ELj16ELj320ELj100EEvPKT0_PS4_.num_named_barrier, 0
	.set _Z6kernelI9histogramILN6hipcub23BlockHistogramAlgorithmE1EEyLj320ELj16ELj320ELj100EEvPKT0_PS4_.private_seg_size, 12
	.set _Z6kernelI9histogramILN6hipcub23BlockHistogramAlgorithmE1EEyLj320ELj16ELj320ELj100EEvPKT0_PS4_.uses_vcc, 1
	.set _Z6kernelI9histogramILN6hipcub23BlockHistogramAlgorithmE1EEyLj320ELj16ELj320ELj100EEvPKT0_PS4_.uses_flat_scratch, 0
	.set _Z6kernelI9histogramILN6hipcub23BlockHistogramAlgorithmE1EEyLj320ELj16ELj320ELj100EEvPKT0_PS4_.has_dyn_sized_stack, 0
	.set _Z6kernelI9histogramILN6hipcub23BlockHistogramAlgorithmE1EEyLj320ELj16ELj320ELj100EEvPKT0_PS4_.has_recursion, 0
	.set _Z6kernelI9histogramILN6hipcub23BlockHistogramAlgorithmE1EEyLj320ELj16ELj320ELj100EEvPKT0_PS4_.has_indirect_call, 0
	.section	.AMDGPU.csdata,"",@progbits
; Kernel info:
; codeLenInByte = 10140
; TotalNumSgprs: 48
; NumVgprs: 128
; ScratchSize: 12
; MemoryBound: 0
; FloatMode: 240
; IeeeMode: 1
; LDSByteSize: 44800 bytes/workgroup (compile time only)
; SGPRBlocks: 12
; VGPRBlocks: 31
; NumSGPRsForWavesPerEU: 102
; NumVGPRsForWavesPerEU: 128
; Occupancy: 2
; WaveLimiterHint : 0
; COMPUTE_PGM_RSRC2:SCRATCH_EN: 1
; COMPUTE_PGM_RSRC2:USER_SGPR: 6
; COMPUTE_PGM_RSRC2:TRAP_HANDLER: 0
; COMPUTE_PGM_RSRC2:TGID_X_EN: 1
; COMPUTE_PGM_RSRC2:TGID_Y_EN: 0
; COMPUTE_PGM_RSRC2:TGID_Z_EN: 0
; COMPUTE_PGM_RSRC2:TIDIG_COMP_CNT: 2
	.section	.AMDGPU.gpr_maximums,"",@progbits
	.set amdgpu.max_num_vgpr, 0
	.set amdgpu.max_num_agpr, 0
	.set amdgpu.max_num_sgpr, 0
	.section	.AMDGPU.csdata,"",@progbits
	.type	__hip_cuid_e48258c24ce3e7b7,@object ; @__hip_cuid_e48258c24ce3e7b7
	.section	.bss,"aw",@nobits
	.globl	__hip_cuid_e48258c24ce3e7b7
__hip_cuid_e48258c24ce3e7b7:
	.byte	0                               ; 0x0
	.size	__hip_cuid_e48258c24ce3e7b7, 1

	.ident	"AMD clang version 22.0.0git (https://github.com/RadeonOpenCompute/llvm-project roc-7.2.4 26084 f58b06dce1f9c15707c5f808fd002e18c2accf7e)"
	.section	".note.GNU-stack","",@progbits
	.addrsig
	.addrsig_sym __hip_cuid_e48258c24ce3e7b7
	.amdgpu_metadata
---
amdhsa.kernels:
  - .args:
      - .address_space:  global
        .offset:         0
        .size:           8
        .value_kind:     global_buffer
      - .address_space:  global
        .offset:         8
        .size:           8
        .value_kind:     global_buffer
    .group_segment_fixed_size: 1024
    .kernarg_segment_align: 8
    .kernarg_segment_size: 16
    .language:       OpenCL C
    .language_version:
      - 2
      - 0
    .max_flat_workgroup_size: 256
    .name:           _Z6kernelI9histogramILN6hipcub23BlockHistogramAlgorithmE0EEiLj256ELj1ELj256ELj100EEvPKT0_PS4_
    .private_segment_fixed_size: 0
    .sgpr_count:     28
    .sgpr_spill_count: 0
    .symbol:         _Z6kernelI9histogramILN6hipcub23BlockHistogramAlgorithmE0EEiLj256ELj1ELj256ELj100EEvPKT0_PS4_.kd
    .uniform_work_group_size: 1
    .uses_dynamic_stack: false
    .vgpr_count:     23
    .vgpr_spill_count: 0
    .wavefront_size: 64
  - .args:
      - .address_space:  global
        .offset:         0
        .size:           8
        .value_kind:     global_buffer
      - .address_space:  global
        .offset:         8
        .size:           8
        .value_kind:     global_buffer
    .group_segment_fixed_size: 1024
    .kernarg_segment_align: 8
    .kernarg_segment_size: 16
    .language:       OpenCL C
    .language_version:
      - 2
      - 0
    .max_flat_workgroup_size: 256
    .name:           _Z6kernelI9histogramILN6hipcub23BlockHistogramAlgorithmE0EEiLj256ELj2ELj256ELj100EEvPKT0_PS4_
    .private_segment_fixed_size: 0
    .sgpr_count:     46
    .sgpr_spill_count: 0
    .symbol:         _Z6kernelI9histogramILN6hipcub23BlockHistogramAlgorithmE0EEiLj256ELj2ELj256ELj100EEvPKT0_PS4_.kd
    .uniform_work_group_size: 1
    .uses_dynamic_stack: false
    .vgpr_count:     41
    .vgpr_spill_count: 0
    .wavefront_size: 64
  - .args:
      - .address_space:  global
        .offset:         0
        .size:           8
        .value_kind:     global_buffer
      - .address_space:  global
        .offset:         8
        .size:           8
        .value_kind:     global_buffer
    .group_segment_fixed_size: 1024
    .kernarg_segment_align: 8
    .kernarg_segment_size: 16
    .language:       OpenCL C
    .language_version:
      - 2
      - 0
    .max_flat_workgroup_size: 256
    .name:           _Z6kernelI9histogramILN6hipcub23BlockHistogramAlgorithmE0EEiLj256ELj3ELj256ELj100EEvPKT0_PS4_
    .private_segment_fixed_size: 0
    .sgpr_count:     60
    .sgpr_spill_count: 0
    .symbol:         _Z6kernelI9histogramILN6hipcub23BlockHistogramAlgorithmE0EEiLj256ELj3ELj256ELj100EEvPKT0_PS4_.kd
    .uniform_work_group_size: 1
    .uses_dynamic_stack: false
    .vgpr_count:     58
    .vgpr_spill_count: 0
    .wavefront_size: 64
  - .args:
      - .address_space:  global
        .offset:         0
        .size:           8
        .value_kind:     global_buffer
      - .address_space:  global
        .offset:         8
        .size:           8
        .value_kind:     global_buffer
    .group_segment_fixed_size: 1024
    .kernarg_segment_align: 8
    .kernarg_segment_size: 16
    .language:       OpenCL C
    .language_version:
      - 2
      - 0
    .max_flat_workgroup_size: 256
    .name:           _Z6kernelI9histogramILN6hipcub23BlockHistogramAlgorithmE0EEiLj256ELj4ELj256ELj100EEvPKT0_PS4_
    .private_segment_fixed_size: 0
    .sgpr_count:     78
    .sgpr_spill_count: 0
    .symbol:         _Z6kernelI9histogramILN6hipcub23BlockHistogramAlgorithmE0EEiLj256ELj4ELj256ELj100EEvPKT0_PS4_.kd
    .uniform_work_group_size: 1
    .uses_dynamic_stack: false
    .vgpr_count:     75
    .vgpr_spill_count: 0
    .wavefront_size: 64
  - .args:
      - .address_space:  global
        .offset:         0
        .size:           8
        .value_kind:     global_buffer
      - .address_space:  global
        .offset:         8
        .size:           8
        .value_kind:     global_buffer
    .group_segment_fixed_size: 1024
    .kernarg_segment_align: 8
    .kernarg_segment_size: 16
    .language:       OpenCL C
    .language_version:
      - 2
      - 0
    .max_flat_workgroup_size: 256
    .name:           _Z6kernelI9histogramILN6hipcub23BlockHistogramAlgorithmE0EEiLj256ELj8ELj256ELj100EEvPKT0_PS4_
    .private_segment_fixed_size: 0
    .sgpr_count:     100
    .sgpr_spill_count: 43
    .symbol:         _Z6kernelI9histogramILN6hipcub23BlockHistogramAlgorithmE0EEiLj256ELj8ELj256ELj100EEvPKT0_PS4_.kd
    .uniform_work_group_size: 1
    .uses_dynamic_stack: false
    .vgpr_count:     144
    .vgpr_spill_count: 0
    .wavefront_size: 64
  - .args:
      - .address_space:  global
        .offset:         0
        .size:           8
        .value_kind:     global_buffer
      - .address_space:  global
        .offset:         8
        .size:           8
        .value_kind:     global_buffer
    .group_segment_fixed_size: 1024
    .kernarg_segment_align: 8
    .kernarg_segment_size: 16
    .language:       OpenCL C
    .language_version:
      - 2
      - 0
    .max_flat_workgroup_size: 256
    .name:           _Z6kernelI9histogramILN6hipcub23BlockHistogramAlgorithmE0EEiLj256ELj16ELj256ELj100EEvPKT0_PS4_
    .private_segment_fixed_size: 200
    .sgpr_count:     104
    .sgpr_spill_count: 171
    .symbol:         _Z6kernelI9histogramILN6hipcub23BlockHistogramAlgorithmE0EEiLj256ELj16ELj256ELj100EEvPKT0_PS4_.kd
    .uniform_work_group_size: 1
    .uses_dynamic_stack: false
    .vgpr_count:     256
    .vgpr_spill_count: 49
    .wavefront_size: 64
  - .args:
      - .address_space:  global
        .offset:         0
        .size:           8
        .value_kind:     global_buffer
      - .address_space:  global
        .offset:         8
        .size:           8
        .value_kind:     global_buffer
    .group_segment_fixed_size: 1280
    .kernarg_segment_align: 8
    .kernarg_segment_size: 16
    .language:       OpenCL C
    .language_version:
      - 2
      - 0
    .max_flat_workgroup_size: 320
    .name:           _Z6kernelI9histogramILN6hipcub23BlockHistogramAlgorithmE0EEiLj320ELj1ELj320ELj100EEvPKT0_PS4_
    .private_segment_fixed_size: 0
    .sgpr_count:     29
    .sgpr_spill_count: 0
    .symbol:         _Z6kernelI9histogramILN6hipcub23BlockHistogramAlgorithmE0EEiLj320ELj1ELj320ELj100EEvPKT0_PS4_.kd
    .uniform_work_group_size: 1
    .uses_dynamic_stack: false
    .vgpr_count:     26
    .vgpr_spill_count: 0
    .wavefront_size: 64
  - .args:
      - .address_space:  global
        .offset:         0
        .size:           8
        .value_kind:     global_buffer
      - .address_space:  global
        .offset:         8
        .size:           8
        .value_kind:     global_buffer
    .group_segment_fixed_size: 1280
    .kernarg_segment_align: 8
    .kernarg_segment_size: 16
    .language:       OpenCL C
    .language_version:
      - 2
      - 0
    .max_flat_workgroup_size: 320
    .name:           _Z6kernelI9histogramILN6hipcub23BlockHistogramAlgorithmE0EEiLj320ELj2ELj320ELj100EEvPKT0_PS4_
    .private_segment_fixed_size: 0
    .sgpr_count:     48
    .sgpr_spill_count: 0
    .symbol:         _Z6kernelI9histogramILN6hipcub23BlockHistogramAlgorithmE0EEiLj320ELj2ELj320ELj100EEvPKT0_PS4_.kd
    .uniform_work_group_size: 1
    .uses_dynamic_stack: false
    .vgpr_count:     45
    .vgpr_spill_count: 0
    .wavefront_size: 64
  - .args:
      - .address_space:  global
        .offset:         0
        .size:           8
        .value_kind:     global_buffer
      - .address_space:  global
        .offset:         8
        .size:           8
        .value_kind:     global_buffer
    .group_segment_fixed_size: 1280
    .kernarg_segment_align: 8
    .kernarg_segment_size: 16
    .language:       OpenCL C
    .language_version:
      - 2
      - 0
    .max_flat_workgroup_size: 320
    .name:           _Z6kernelI9histogramILN6hipcub23BlockHistogramAlgorithmE0EEiLj320ELj3ELj320ELj100EEvPKT0_PS4_
    .private_segment_fixed_size: 0
    .sgpr_count:     66
    .sgpr_spill_count: 0
    .symbol:         _Z6kernelI9histogramILN6hipcub23BlockHistogramAlgorithmE0EEiLj320ELj3ELj320ELj100EEvPKT0_PS4_.kd
    .uniform_work_group_size: 1
    .uses_dynamic_stack: false
    .vgpr_count:     64
    .vgpr_spill_count: 0
    .wavefront_size: 64
  - .args:
      - .address_space:  global
        .offset:         0
        .size:           8
        .value_kind:     global_buffer
      - .address_space:  global
        .offset:         8
        .size:           8
        .value_kind:     global_buffer
    .group_segment_fixed_size: 1280
    .kernarg_segment_align: 8
    .kernarg_segment_size: 16
    .language:       OpenCL C
    .language_version:
      - 2
      - 0
    .max_flat_workgroup_size: 320
    .name:           _Z6kernelI9histogramILN6hipcub23BlockHistogramAlgorithmE0EEiLj320ELj4ELj320ELj100EEvPKT0_PS4_
    .private_segment_fixed_size: 0
    .sgpr_count:     84
    .sgpr_spill_count: 0
    .symbol:         _Z6kernelI9histogramILN6hipcub23BlockHistogramAlgorithmE0EEiLj320ELj4ELj320ELj100EEvPKT0_PS4_.kd
    .uniform_work_group_size: 1
    .uses_dynamic_stack: false
    .vgpr_count:     83
    .vgpr_spill_count: 0
    .wavefront_size: 64
  - .args:
      - .address_space:  global
        .offset:         0
        .size:           8
        .value_kind:     global_buffer
      - .address_space:  global
        .offset:         8
        .size:           8
        .value_kind:     global_buffer
    .group_segment_fixed_size: 1280
    .kernarg_segment_align: 8
    .kernarg_segment_size: 16
    .language:       OpenCL C
    .language_version:
      - 2
      - 0
    .max_flat_workgroup_size: 320
    .name:           _Z6kernelI9histogramILN6hipcub23BlockHistogramAlgorithmE0EEiLj320ELj8ELj320ELj100EEvPKT0_PS4_
    .private_segment_fixed_size: 152
    .sgpr_count:     104
    .sgpr_spill_count: 58
    .symbol:         _Z6kernelI9histogramILN6hipcub23BlockHistogramAlgorithmE0EEiLj320ELj8ELj320ELj100EEvPKT0_PS4_.kd
    .uniform_work_group_size: 1
    .uses_dynamic_stack: false
    .vgpr_count:     128
    .vgpr_spill_count: 41
    .wavefront_size: 64
  - .args:
      - .address_space:  global
        .offset:         0
        .size:           8
        .value_kind:     global_buffer
      - .address_space:  global
        .offset:         8
        .size:           8
        .value_kind:     global_buffer
    .group_segment_fixed_size: 1280
    .kernarg_segment_align: 8
    .kernarg_segment_size: 16
    .language:       OpenCL C
    .language_version:
      - 2
      - 0
    .max_flat_workgroup_size: 320
    .name:           _Z6kernelI9histogramILN6hipcub23BlockHistogramAlgorithmE0EEiLj320ELj16ELj320ELj100EEvPKT0_PS4_
    .private_segment_fixed_size: 900
    .sgpr_count:     104
    .sgpr_spill_count: 230
    .symbol:         _Z6kernelI9histogramILN6hipcub23BlockHistogramAlgorithmE0EEiLj320ELj16ELj320ELj100EEvPKT0_PS4_.kd
    .uniform_work_group_size: 1
    .uses_dynamic_stack: false
    .vgpr_count:     128
    .vgpr_spill_count: 337
    .wavefront_size: 64
  - .args:
      - .address_space:  global
        .offset:         0
        .size:           8
        .value_kind:     global_buffer
      - .address_space:  global
        .offset:         8
        .size:           8
        .value_kind:     global_buffer
    .group_segment_fixed_size: 2048
    .kernarg_segment_align: 8
    .kernarg_segment_size: 16
    .language:       OpenCL C
    .language_version:
      - 2
      - 0
    .max_flat_workgroup_size: 512
    .name:           _Z6kernelI9histogramILN6hipcub23BlockHistogramAlgorithmE0EEiLj512ELj1ELj512ELj100EEvPKT0_PS4_
    .private_segment_fixed_size: 0
    .sgpr_count:     29
    .sgpr_spill_count: 0
    .symbol:         _Z6kernelI9histogramILN6hipcub23BlockHistogramAlgorithmE0EEiLj512ELj1ELj512ELj100EEvPKT0_PS4_.kd
    .uniform_work_group_size: 1
    .uses_dynamic_stack: false
    .vgpr_count:     25
    .vgpr_spill_count: 0
    .wavefront_size: 64
  - .args:
      - .address_space:  global
        .offset:         0
        .size:           8
        .value_kind:     global_buffer
      - .address_space:  global
        .offset:         8
        .size:           8
        .value_kind:     global_buffer
    .group_segment_fixed_size: 2048
    .kernarg_segment_align: 8
    .kernarg_segment_size: 16
    .language:       OpenCL C
    .language_version:
      - 2
      - 0
    .max_flat_workgroup_size: 512
    .name:           _Z6kernelI9histogramILN6hipcub23BlockHistogramAlgorithmE0EEiLj512ELj2ELj512ELj100EEvPKT0_PS4_
    .private_segment_fixed_size: 0
    .sgpr_count:     50
    .sgpr_spill_count: 0
    .symbol:         _Z6kernelI9histogramILN6hipcub23BlockHistogramAlgorithmE0EEiLj512ELj2ELj512ELj100EEvPKT0_PS4_.kd
    .uniform_work_group_size: 1
    .uses_dynamic_stack: false
    .vgpr_count:     45
    .vgpr_spill_count: 0
    .wavefront_size: 64
  - .args:
      - .address_space:  global
        .offset:         0
        .size:           8
        .value_kind:     global_buffer
      - .address_space:  global
        .offset:         8
        .size:           8
        .value_kind:     global_buffer
    .group_segment_fixed_size: 2048
    .kernarg_segment_align: 8
    .kernarg_segment_size: 16
    .language:       OpenCL C
    .language_version:
      - 2
      - 0
    .max_flat_workgroup_size: 512
    .name:           _Z6kernelI9histogramILN6hipcub23BlockHistogramAlgorithmE0EEiLj512ELj3ELj512ELj100EEvPKT0_PS4_
    .private_segment_fixed_size: 0
    .sgpr_count:     66
    .sgpr_spill_count: 0
    .symbol:         _Z6kernelI9histogramILN6hipcub23BlockHistogramAlgorithmE0EEiLj512ELj3ELj512ELj100EEvPKT0_PS4_.kd
    .uniform_work_group_size: 1
    .uses_dynamic_stack: false
    .vgpr_count:     64
    .vgpr_spill_count: 0
    .wavefront_size: 64
  - .args:
      - .address_space:  global
        .offset:         0
        .size:           8
        .value_kind:     global_buffer
      - .address_space:  global
        .offset:         8
        .size:           8
        .value_kind:     global_buffer
    .group_segment_fixed_size: 2048
    .kernarg_segment_align: 8
    .kernarg_segment_size: 16
    .language:       OpenCL C
    .language_version:
      - 2
      - 0
    .max_flat_workgroup_size: 512
    .name:           _Z6kernelI9histogramILN6hipcub23BlockHistogramAlgorithmE0EEiLj512ELj4ELj512ELj100EEvPKT0_PS4_
    .private_segment_fixed_size: 0
    .sgpr_count:     86
    .sgpr_spill_count: 0
    .symbol:         _Z6kernelI9histogramILN6hipcub23BlockHistogramAlgorithmE0EEiLj512ELj4ELj512ELj100EEvPKT0_PS4_.kd
    .uniform_work_group_size: 1
    .uses_dynamic_stack: false
    .vgpr_count:     83
    .vgpr_spill_count: 0
    .wavefront_size: 64
  - .args:
      - .address_space:  global
        .offset:         0
        .size:           8
        .value_kind:     global_buffer
      - .address_space:  global
        .offset:         8
        .size:           8
        .value_kind:     global_buffer
    .group_segment_fixed_size: 2048
    .kernarg_segment_align: 8
    .kernarg_segment_size: 16
    .language:       OpenCL C
    .language_version:
      - 2
      - 0
    .max_flat_workgroup_size: 512
    .name:           _Z6kernelI9histogramILN6hipcub23BlockHistogramAlgorithmE0EEiLj512ELj8ELj512ELj100EEvPKT0_PS4_
    .private_segment_fixed_size: 152
    .sgpr_count:     104
    .sgpr_spill_count: 59
    .symbol:         _Z6kernelI9histogramILN6hipcub23BlockHistogramAlgorithmE0EEiLj512ELj8ELj512ELj100EEvPKT0_PS4_.kd
    .uniform_work_group_size: 1
    .uses_dynamic_stack: false
    .vgpr_count:     128
    .vgpr_spill_count: 39
    .wavefront_size: 64
  - .args:
      - .address_space:  global
        .offset:         0
        .size:           8
        .value_kind:     global_buffer
      - .address_space:  global
        .offset:         8
        .size:           8
        .value_kind:     global_buffer
    .group_segment_fixed_size: 2048
    .kernarg_segment_align: 8
    .kernarg_segment_size: 16
    .language:       OpenCL C
    .language_version:
      - 2
      - 0
    .max_flat_workgroup_size: 512
    .name:           _Z6kernelI9histogramILN6hipcub23BlockHistogramAlgorithmE0EEiLj512ELj16ELj512ELj100EEvPKT0_PS4_
    .private_segment_fixed_size: 920
    .sgpr_count:     104
    .sgpr_spill_count: 231
    .symbol:         _Z6kernelI9histogramILN6hipcub23BlockHistogramAlgorithmE0EEiLj512ELj16ELj512ELj100EEvPKT0_PS4_.kd
    .uniform_work_group_size: 1
    .uses_dynamic_stack: false
    .vgpr_count:     128
    .vgpr_spill_count: 341
    .wavefront_size: 64
  - .args:
      - .address_space:  global
        .offset:         0
        .size:           8
        .value_kind:     global_buffer
      - .address_space:  global
        .offset:         8
        .size:           8
        .value_kind:     global_buffer
    .group_segment_fixed_size: 2048
    .kernarg_segment_align: 8
    .kernarg_segment_size: 16
    .language:       OpenCL C
    .language_version:
      - 2
      - 0
    .max_flat_workgroup_size: 256
    .name:           _Z6kernelI9histogramILN6hipcub23BlockHistogramAlgorithmE0EEyLj256ELj1ELj256ELj100EEvPKT0_PS4_
    .private_segment_fixed_size: 0
    .sgpr_count:     28
    .sgpr_spill_count: 0
    .symbol:         _Z6kernelI9histogramILN6hipcub23BlockHistogramAlgorithmE0EEyLj256ELj1ELj256ELj100EEvPKT0_PS4_.kd
    .uniform_work_group_size: 1
    .uses_dynamic_stack: false
    .vgpr_count:     23
    .vgpr_spill_count: 0
    .wavefront_size: 64
  - .args:
      - .address_space:  global
        .offset:         0
        .size:           8
        .value_kind:     global_buffer
      - .address_space:  global
        .offset:         8
        .size:           8
        .value_kind:     global_buffer
    .group_segment_fixed_size: 2048
    .kernarg_segment_align: 8
    .kernarg_segment_size: 16
    .language:       OpenCL C
    .language_version:
      - 2
      - 0
    .max_flat_workgroup_size: 256
    .name:           _Z6kernelI9histogramILN6hipcub23BlockHistogramAlgorithmE0EEyLj256ELj2ELj256ELj100EEvPKT0_PS4_
    .private_segment_fixed_size: 0
    .sgpr_count:     46
    .sgpr_spill_count: 0
    .symbol:         _Z6kernelI9histogramILN6hipcub23BlockHistogramAlgorithmE0EEyLj256ELj2ELj256ELj100EEvPKT0_PS4_.kd
    .uniform_work_group_size: 1
    .uses_dynamic_stack: false
    .vgpr_count:     41
    .vgpr_spill_count: 0
    .wavefront_size: 64
  - .args:
      - .address_space:  global
        .offset:         0
        .size:           8
        .value_kind:     global_buffer
      - .address_space:  global
        .offset:         8
        .size:           8
        .value_kind:     global_buffer
    .group_segment_fixed_size: 2048
    .kernarg_segment_align: 8
    .kernarg_segment_size: 16
    .language:       OpenCL C
    .language_version:
      - 2
      - 0
    .max_flat_workgroup_size: 256
    .name:           _Z6kernelI9histogramILN6hipcub23BlockHistogramAlgorithmE0EEyLj256ELj3ELj256ELj100EEvPKT0_PS4_
    .private_segment_fixed_size: 0
    .sgpr_count:     60
    .sgpr_spill_count: 0
    .symbol:         _Z6kernelI9histogramILN6hipcub23BlockHistogramAlgorithmE0EEyLj256ELj3ELj256ELj100EEvPKT0_PS4_.kd
    .uniform_work_group_size: 1
    .uses_dynamic_stack: false
    .vgpr_count:     58
    .vgpr_spill_count: 0
    .wavefront_size: 64
  - .args:
      - .address_space:  global
        .offset:         0
        .size:           8
        .value_kind:     global_buffer
      - .address_space:  global
        .offset:         8
        .size:           8
        .value_kind:     global_buffer
    .group_segment_fixed_size: 2048
    .kernarg_segment_align: 8
    .kernarg_segment_size: 16
    .language:       OpenCL C
    .language_version:
      - 2
      - 0
    .max_flat_workgroup_size: 256
    .name:           _Z6kernelI9histogramILN6hipcub23BlockHistogramAlgorithmE0EEyLj256ELj4ELj256ELj100EEvPKT0_PS4_
    .private_segment_fixed_size: 0
    .sgpr_count:     78
    .sgpr_spill_count: 0
    .symbol:         _Z6kernelI9histogramILN6hipcub23BlockHistogramAlgorithmE0EEyLj256ELj4ELj256ELj100EEvPKT0_PS4_.kd
    .uniform_work_group_size: 1
    .uses_dynamic_stack: false
    .vgpr_count:     75
    .vgpr_spill_count: 0
    .wavefront_size: 64
  - .args:
      - .address_space:  global
        .offset:         0
        .size:           8
        .value_kind:     global_buffer
      - .address_space:  global
        .offset:         8
        .size:           8
        .value_kind:     global_buffer
    .group_segment_fixed_size: 2048
    .kernarg_segment_align: 8
    .kernarg_segment_size: 16
    .language:       OpenCL C
    .language_version:
      - 2
      - 0
    .max_flat_workgroup_size: 256
    .name:           _Z6kernelI9histogramILN6hipcub23BlockHistogramAlgorithmE0EEyLj256ELj8ELj256ELj100EEvPKT0_PS4_
    .private_segment_fixed_size: 0
    .sgpr_count:     100
    .sgpr_spill_count: 43
    .symbol:         _Z6kernelI9histogramILN6hipcub23BlockHistogramAlgorithmE0EEyLj256ELj8ELj256ELj100EEvPKT0_PS4_.kd
    .uniform_work_group_size: 1
    .uses_dynamic_stack: false
    .vgpr_count:     149
    .vgpr_spill_count: 0
    .wavefront_size: 64
  - .args:
      - .address_space:  global
        .offset:         0
        .size:           8
        .value_kind:     global_buffer
      - .address_space:  global
        .offset:         8
        .size:           8
        .value_kind:     global_buffer
    .group_segment_fixed_size: 2048
    .kernarg_segment_align: 8
    .kernarg_segment_size: 16
    .language:       OpenCL C
    .language_version:
      - 2
      - 0
    .max_flat_workgroup_size: 256
    .name:           _Z6kernelI9histogramILN6hipcub23BlockHistogramAlgorithmE0EEyLj256ELj16ELj256ELj100EEvPKT0_PS4_
    .private_segment_fixed_size: 108
    .sgpr_count:     104
    .sgpr_spill_count: 171
    .symbol:         _Z6kernelI9histogramILN6hipcub23BlockHistogramAlgorithmE0EEyLj256ELj16ELj256ELj100EEvPKT0_PS4_.kd
    .uniform_work_group_size: 1
    .uses_dynamic_stack: false
    .vgpr_count:     256
    .vgpr_spill_count: 26
    .wavefront_size: 64
  - .args:
      - .address_space:  global
        .offset:         0
        .size:           8
        .value_kind:     global_buffer
      - .address_space:  global
        .offset:         8
        .size:           8
        .value_kind:     global_buffer
    .group_segment_fixed_size: 2560
    .kernarg_segment_align: 8
    .kernarg_segment_size: 16
    .language:       OpenCL C
    .language_version:
      - 2
      - 0
    .max_flat_workgroup_size: 320
    .name:           _Z6kernelI9histogramILN6hipcub23BlockHistogramAlgorithmE0EEyLj320ELj1ELj320ELj100EEvPKT0_PS4_
    .private_segment_fixed_size: 0
    .sgpr_count:     29
    .sgpr_spill_count: 0
    .symbol:         _Z6kernelI9histogramILN6hipcub23BlockHistogramAlgorithmE0EEyLj320ELj1ELj320ELj100EEvPKT0_PS4_.kd
    .uniform_work_group_size: 1
    .uses_dynamic_stack: false
    .vgpr_count:     26
    .vgpr_spill_count: 0
    .wavefront_size: 64
  - .args:
      - .address_space:  global
        .offset:         0
        .size:           8
        .value_kind:     global_buffer
      - .address_space:  global
        .offset:         8
        .size:           8
        .value_kind:     global_buffer
    .group_segment_fixed_size: 2560
    .kernarg_segment_align: 8
    .kernarg_segment_size: 16
    .language:       OpenCL C
    .language_version:
      - 2
      - 0
    .max_flat_workgroup_size: 320
    .name:           _Z6kernelI9histogramILN6hipcub23BlockHistogramAlgorithmE0EEyLj320ELj2ELj320ELj100EEvPKT0_PS4_
    .private_segment_fixed_size: 0
    .sgpr_count:     48
    .sgpr_spill_count: 0
    .symbol:         _Z6kernelI9histogramILN6hipcub23BlockHistogramAlgorithmE0EEyLj320ELj2ELj320ELj100EEvPKT0_PS4_.kd
    .uniform_work_group_size: 1
    .uses_dynamic_stack: false
    .vgpr_count:     45
    .vgpr_spill_count: 0
    .wavefront_size: 64
  - .args:
      - .address_space:  global
        .offset:         0
        .size:           8
        .value_kind:     global_buffer
      - .address_space:  global
        .offset:         8
        .size:           8
        .value_kind:     global_buffer
    .group_segment_fixed_size: 2560
    .kernarg_segment_align: 8
    .kernarg_segment_size: 16
    .language:       OpenCL C
    .language_version:
      - 2
      - 0
    .max_flat_workgroup_size: 320
    .name:           _Z6kernelI9histogramILN6hipcub23BlockHistogramAlgorithmE0EEyLj320ELj3ELj320ELj100EEvPKT0_PS4_
    .private_segment_fixed_size: 0
    .sgpr_count:     66
    .sgpr_spill_count: 0
    .symbol:         _Z6kernelI9histogramILN6hipcub23BlockHistogramAlgorithmE0EEyLj320ELj3ELj320ELj100EEvPKT0_PS4_.kd
    .uniform_work_group_size: 1
    .uses_dynamic_stack: false
    .vgpr_count:     64
    .vgpr_spill_count: 0
    .wavefront_size: 64
  - .args:
      - .address_space:  global
        .offset:         0
        .size:           8
        .value_kind:     global_buffer
      - .address_space:  global
        .offset:         8
        .size:           8
        .value_kind:     global_buffer
    .group_segment_fixed_size: 2560
    .kernarg_segment_align: 8
    .kernarg_segment_size: 16
    .language:       OpenCL C
    .language_version:
      - 2
      - 0
    .max_flat_workgroup_size: 320
    .name:           _Z6kernelI9histogramILN6hipcub23BlockHistogramAlgorithmE0EEyLj320ELj4ELj320ELj100EEvPKT0_PS4_
    .private_segment_fixed_size: 0
    .sgpr_count:     84
    .sgpr_spill_count: 0
    .symbol:         _Z6kernelI9histogramILN6hipcub23BlockHistogramAlgorithmE0EEyLj320ELj4ELj320ELj100EEvPKT0_PS4_.kd
    .uniform_work_group_size: 1
    .uses_dynamic_stack: false
    .vgpr_count:     83
    .vgpr_spill_count: 0
    .wavefront_size: 64
  - .args:
      - .address_space:  global
        .offset:         0
        .size:           8
        .value_kind:     global_buffer
      - .address_space:  global
        .offset:         8
        .size:           8
        .value_kind:     global_buffer
    .group_segment_fixed_size: 2560
    .kernarg_segment_align: 8
    .kernarg_segment_size: 16
    .language:       OpenCL C
    .language_version:
      - 2
      - 0
    .max_flat_workgroup_size: 320
    .name:           _Z6kernelI9histogramILN6hipcub23BlockHistogramAlgorithmE0EEyLj320ELj8ELj320ELj100EEvPKT0_PS4_
    .private_segment_fixed_size: 136
    .sgpr_count:     104
    .sgpr_spill_count: 58
    .symbol:         _Z6kernelI9histogramILN6hipcub23BlockHistogramAlgorithmE0EEyLj320ELj8ELj320ELj100EEvPKT0_PS4_.kd
    .uniform_work_group_size: 1
    .uses_dynamic_stack: false
    .vgpr_count:     128
    .vgpr_spill_count: 33
    .wavefront_size: 64
  - .args:
      - .address_space:  global
        .offset:         0
        .size:           8
        .value_kind:     global_buffer
      - .address_space:  global
        .offset:         8
        .size:           8
        .value_kind:     global_buffer
    .group_segment_fixed_size: 2560
    .kernarg_segment_align: 8
    .kernarg_segment_size: 16
    .language:       OpenCL C
    .language_version:
      - 2
      - 0
    .max_flat_workgroup_size: 320
    .name:           _Z6kernelI9histogramILN6hipcub23BlockHistogramAlgorithmE0EEyLj320ELj16ELj320ELj100EEvPKT0_PS4_
    .private_segment_fixed_size: 832
    .sgpr_count:     104
    .sgpr_spill_count: 230
    .symbol:         _Z6kernelI9histogramILN6hipcub23BlockHistogramAlgorithmE0EEyLj320ELj16ELj320ELj100EEvPKT0_PS4_.kd
    .uniform_work_group_size: 1
    .uses_dynamic_stack: false
    .vgpr_count:     128
    .vgpr_spill_count: 267
    .wavefront_size: 64
  - .args:
      - .address_space:  global
        .offset:         0
        .size:           8
        .value_kind:     global_buffer
      - .address_space:  global
        .offset:         8
        .size:           8
        .value_kind:     global_buffer
      - .offset:         16
        .size:           4
        .value_kind:     hidden_block_count_x
      - .offset:         20
        .size:           4
        .value_kind:     hidden_block_count_y
      - .offset:         24
        .size:           4
        .value_kind:     hidden_block_count_z
      - .offset:         28
        .size:           2
        .value_kind:     hidden_group_size_x
      - .offset:         30
        .size:           2
        .value_kind:     hidden_group_size_y
      - .offset:         32
        .size:           2
        .value_kind:     hidden_group_size_z
      - .offset:         34
        .size:           2
        .value_kind:     hidden_remainder_x
      - .offset:         36
        .size:           2
        .value_kind:     hidden_remainder_y
      - .offset:         38
        .size:           2
        .value_kind:     hidden_remainder_z
      - .offset:         56
        .size:           8
        .value_kind:     hidden_global_offset_x
      - .offset:         64
        .size:           8
        .value_kind:     hidden_global_offset_y
      - .offset:         72
        .size:           8
        .value_kind:     hidden_global_offset_z
      - .offset:         80
        .size:           2
        .value_kind:     hidden_grid_dims
    .group_segment_fixed_size: 5136
    .kernarg_segment_align: 8
    .kernarg_segment_size: 272
    .language:       OpenCL C
    .language_version:
      - 2
      - 0
    .max_flat_workgroup_size: 256
    .name:           _Z6kernelI9histogramILN6hipcub23BlockHistogramAlgorithmE1EEiLj256ELj1ELj256ELj100EEvPKT0_PS4_
    .private_segment_fixed_size: 0
    .sgpr_count:     45
    .sgpr_spill_count: 0
    .symbol:         _Z6kernelI9histogramILN6hipcub23BlockHistogramAlgorithmE1EEiLj256ELj1ELj256ELj100EEvPKT0_PS4_.kd
    .uniform_work_group_size: 1
    .uses_dynamic_stack: false
    .vgpr_count:     35
    .vgpr_spill_count: 0
    .wavefront_size: 64
  - .args:
      - .address_space:  global
        .offset:         0
        .size:           8
        .value_kind:     global_buffer
      - .address_space:  global
        .offset:         8
        .size:           8
        .value_kind:     global_buffer
      - .offset:         16
        .size:           4
        .value_kind:     hidden_block_count_x
      - .offset:         20
        .size:           4
        .value_kind:     hidden_block_count_y
      - .offset:         24
        .size:           4
        .value_kind:     hidden_block_count_z
      - .offset:         28
        .size:           2
        .value_kind:     hidden_group_size_x
      - .offset:         30
        .size:           2
        .value_kind:     hidden_group_size_y
      - .offset:         32
        .size:           2
        .value_kind:     hidden_group_size_z
      - .offset:         34
        .size:           2
        .value_kind:     hidden_remainder_x
      - .offset:         36
        .size:           2
        .value_kind:     hidden_remainder_y
      - .offset:         38
        .size:           2
        .value_kind:     hidden_remainder_z
      - .offset:         56
        .size:           8
        .value_kind:     hidden_global_offset_x
      - .offset:         64
        .size:           8
        .value_kind:     hidden_global_offset_y
      - .offset:         72
        .size:           8
        .value_kind:     hidden_global_offset_z
      - .offset:         80
        .size:           2
        .value_kind:     hidden_grid_dims
    .group_segment_fixed_size: 5136
    .kernarg_segment_align: 8
    .kernarg_segment_size: 272
    .language:       OpenCL C
    .language_version:
      - 2
      - 0
    .max_flat_workgroup_size: 256
    .name:           _Z6kernelI9histogramILN6hipcub23BlockHistogramAlgorithmE1EEiLj256ELj2ELj256ELj100EEvPKT0_PS4_
    .private_segment_fixed_size: 0
    .sgpr_count:     48
    .sgpr_spill_count: 0
    .symbol:         _Z6kernelI9histogramILN6hipcub23BlockHistogramAlgorithmE1EEiLj256ELj2ELj256ELj100EEvPKT0_PS4_.kd
    .uniform_work_group_size: 1
    .uses_dynamic_stack: false
    .vgpr_count:     35
    .vgpr_spill_count: 0
    .wavefront_size: 64
  - .args:
      - .address_space:  global
        .offset:         0
        .size:           8
        .value_kind:     global_buffer
      - .address_space:  global
        .offset:         8
        .size:           8
        .value_kind:     global_buffer
      - .offset:         16
        .size:           4
        .value_kind:     hidden_block_count_x
      - .offset:         20
        .size:           4
        .value_kind:     hidden_block_count_y
      - .offset:         24
        .size:           4
        .value_kind:     hidden_block_count_z
      - .offset:         28
        .size:           2
        .value_kind:     hidden_group_size_x
      - .offset:         30
        .size:           2
        .value_kind:     hidden_group_size_y
      - .offset:         32
        .size:           2
        .value_kind:     hidden_group_size_z
      - .offset:         34
        .size:           2
        .value_kind:     hidden_remainder_x
      - .offset:         36
        .size:           2
        .value_kind:     hidden_remainder_y
      - .offset:         38
        .size:           2
        .value_kind:     hidden_remainder_z
      - .offset:         56
        .size:           8
        .value_kind:     hidden_global_offset_x
      - .offset:         64
        .size:           8
        .value_kind:     hidden_global_offset_y
      - .offset:         72
        .size:           8
        .value_kind:     hidden_global_offset_z
      - .offset:         80
        .size:           2
        .value_kind:     hidden_grid_dims
    .group_segment_fixed_size: 5136
    .kernarg_segment_align: 8
    .kernarg_segment_size: 272
    .language:       OpenCL C
    .language_version:
      - 2
      - 0
    .max_flat_workgroup_size: 256
    .name:           _Z6kernelI9histogramILN6hipcub23BlockHistogramAlgorithmE1EEiLj256ELj3ELj256ELj100EEvPKT0_PS4_
    .private_segment_fixed_size: 0
    .sgpr_count:     44
    .sgpr_spill_count: 0
    .symbol:         _Z6kernelI9histogramILN6hipcub23BlockHistogramAlgorithmE1EEiLj256ELj3ELj256ELj100EEvPKT0_PS4_.kd
    .uniform_work_group_size: 1
    .uses_dynamic_stack: false
    .vgpr_count:     42
    .vgpr_spill_count: 0
    .wavefront_size: 64
  - .args:
      - .address_space:  global
        .offset:         0
        .size:           8
        .value_kind:     global_buffer
      - .address_space:  global
        .offset:         8
        .size:           8
        .value_kind:     global_buffer
      - .offset:         16
        .size:           4
        .value_kind:     hidden_block_count_x
      - .offset:         20
        .size:           4
        .value_kind:     hidden_block_count_y
      - .offset:         24
        .size:           4
        .value_kind:     hidden_block_count_z
      - .offset:         28
        .size:           2
        .value_kind:     hidden_group_size_x
      - .offset:         30
        .size:           2
        .value_kind:     hidden_group_size_y
      - .offset:         32
        .size:           2
        .value_kind:     hidden_group_size_z
      - .offset:         34
        .size:           2
        .value_kind:     hidden_remainder_x
      - .offset:         36
        .size:           2
        .value_kind:     hidden_remainder_y
      - .offset:         38
        .size:           2
        .value_kind:     hidden_remainder_z
      - .offset:         56
        .size:           8
        .value_kind:     hidden_global_offset_x
      - .offset:         64
        .size:           8
        .value_kind:     hidden_global_offset_y
      - .offset:         72
        .size:           8
        .value_kind:     hidden_global_offset_z
      - .offset:         80
        .size:           2
        .value_kind:     hidden_grid_dims
    .group_segment_fixed_size: 5136
    .kernarg_segment_align: 8
    .kernarg_segment_size: 272
    .language:       OpenCL C
    .language_version:
      - 2
      - 0
    .max_flat_workgroup_size: 256
    .name:           _Z6kernelI9histogramILN6hipcub23BlockHistogramAlgorithmE1EEiLj256ELj4ELj256ELj100EEvPKT0_PS4_
    .private_segment_fixed_size: 0
    .sgpr_count:     52
    .sgpr_spill_count: 0
    .symbol:         _Z6kernelI9histogramILN6hipcub23BlockHistogramAlgorithmE1EEiLj256ELj4ELj256ELj100EEvPKT0_PS4_.kd
    .uniform_work_group_size: 1
    .uses_dynamic_stack: false
    .vgpr_count:     47
    .vgpr_spill_count: 0
    .wavefront_size: 64
  - .args:
      - .address_space:  global
        .offset:         0
        .size:           8
        .value_kind:     global_buffer
      - .address_space:  global
        .offset:         8
        .size:           8
        .value_kind:     global_buffer
      - .offset:         16
        .size:           4
        .value_kind:     hidden_block_count_x
      - .offset:         20
        .size:           4
        .value_kind:     hidden_block_count_y
      - .offset:         24
        .size:           4
        .value_kind:     hidden_block_count_z
      - .offset:         28
        .size:           2
        .value_kind:     hidden_group_size_x
      - .offset:         30
        .size:           2
        .value_kind:     hidden_group_size_y
      - .offset:         32
        .size:           2
        .value_kind:     hidden_group_size_z
      - .offset:         34
        .size:           2
        .value_kind:     hidden_remainder_x
      - .offset:         36
        .size:           2
        .value_kind:     hidden_remainder_y
      - .offset:         38
        .size:           2
        .value_kind:     hidden_remainder_z
      - .offset:         56
        .size:           8
        .value_kind:     hidden_global_offset_x
      - .offset:         64
        .size:           8
        .value_kind:     hidden_global_offset_y
      - .offset:         72
        .size:           8
        .value_kind:     hidden_global_offset_z
      - .offset:         80
        .size:           2
        .value_kind:     hidden_grid_dims
    .group_segment_fixed_size: 9216
    .kernarg_segment_align: 8
    .kernarg_segment_size: 272
    .language:       OpenCL C
    .language_version:
      - 2
      - 0
    .max_flat_workgroup_size: 256
    .name:           _Z6kernelI9histogramILN6hipcub23BlockHistogramAlgorithmE1EEiLj256ELj8ELj256ELj100EEvPKT0_PS4_
    .private_segment_fixed_size: 0
    .sgpr_count:     46
    .sgpr_spill_count: 0
    .symbol:         _Z6kernelI9histogramILN6hipcub23BlockHistogramAlgorithmE1EEiLj256ELj8ELj256ELj100EEvPKT0_PS4_.kd
    .uniform_work_group_size: 1
    .uses_dynamic_stack: false
    .vgpr_count:     66
    .vgpr_spill_count: 0
    .wavefront_size: 64
  - .args:
      - .address_space:  global
        .offset:         0
        .size:           8
        .value_kind:     global_buffer
      - .address_space:  global
        .offset:         8
        .size:           8
        .value_kind:     global_buffer
      - .offset:         16
        .size:           4
        .value_kind:     hidden_block_count_x
      - .offset:         20
        .size:           4
        .value_kind:     hidden_block_count_y
      - .offset:         24
        .size:           4
        .value_kind:     hidden_block_count_z
      - .offset:         28
        .size:           2
        .value_kind:     hidden_group_size_x
      - .offset:         30
        .size:           2
        .value_kind:     hidden_group_size_y
      - .offset:         32
        .size:           2
        .value_kind:     hidden_group_size_z
      - .offset:         34
        .size:           2
        .value_kind:     hidden_remainder_x
      - .offset:         36
        .size:           2
        .value_kind:     hidden_remainder_y
      - .offset:         38
        .size:           2
        .value_kind:     hidden_remainder_z
      - .offset:         56
        .size:           8
        .value_kind:     hidden_global_offset_x
      - .offset:         64
        .size:           8
        .value_kind:     hidden_global_offset_y
      - .offset:         72
        .size:           8
        .value_kind:     hidden_global_offset_z
      - .offset:         80
        .size:           2
        .value_kind:     hidden_grid_dims
    .group_segment_fixed_size: 17408
    .kernarg_segment_align: 8
    .kernarg_segment_size: 272
    .language:       OpenCL C
    .language_version:
      - 2
      - 0
    .max_flat_workgroup_size: 256
    .name:           _Z6kernelI9histogramILN6hipcub23BlockHistogramAlgorithmE1EEiLj256ELj16ELj256ELj100EEvPKT0_PS4_
    .private_segment_fixed_size: 0
    .sgpr_count:     46
    .sgpr_spill_count: 0
    .symbol:         _Z6kernelI9histogramILN6hipcub23BlockHistogramAlgorithmE1EEiLj256ELj16ELj256ELj100EEvPKT0_PS4_.kd
    .uniform_work_group_size: 1
    .uses_dynamic_stack: false
    .vgpr_count:     105
    .vgpr_spill_count: 0
    .wavefront_size: 64
  - .args:
      - .address_space:  global
        .offset:         0
        .size:           8
        .value_kind:     global_buffer
      - .address_space:  global
        .offset:         8
        .size:           8
        .value_kind:     global_buffer
      - .offset:         16
        .size:           4
        .value_kind:     hidden_block_count_x
      - .offset:         20
        .size:           4
        .value_kind:     hidden_block_count_y
      - .offset:         24
        .size:           4
        .value_kind:     hidden_block_count_z
      - .offset:         28
        .size:           2
        .value_kind:     hidden_group_size_x
      - .offset:         30
        .size:           2
        .value_kind:     hidden_group_size_y
      - .offset:         32
        .size:           2
        .value_kind:     hidden_group_size_z
      - .offset:         34
        .size:           2
        .value_kind:     hidden_remainder_x
      - .offset:         36
        .size:           2
        .value_kind:     hidden_remainder_y
      - .offset:         38
        .size:           2
        .value_kind:     hidden_remainder_z
      - .offset:         56
        .size:           8
        .value_kind:     hidden_global_offset_x
      - .offset:         64
        .size:           8
        .value_kind:     hidden_global_offset_y
      - .offset:         72
        .size:           8
        .value_kind:     hidden_global_offset_z
      - .offset:         80
        .size:           2
        .value_kind:     hidden_grid_dims
    .group_segment_fixed_size: 6432
    .kernarg_segment_align: 8
    .kernarg_segment_size: 272
    .language:       OpenCL C
    .language_version:
      - 2
      - 0
    .max_flat_workgroup_size: 320
    .name:           _Z6kernelI9histogramILN6hipcub23BlockHistogramAlgorithmE1EEiLj320ELj1ELj320ELj100EEvPKT0_PS4_
    .private_segment_fixed_size: 0
    .sgpr_count:     44
    .sgpr_spill_count: 0
    .symbol:         _Z6kernelI9histogramILN6hipcub23BlockHistogramAlgorithmE1EEiLj320ELj1ELj320ELj100EEvPKT0_PS4_.kd
    .uniform_work_group_size: 1
    .uses_dynamic_stack: false
    .vgpr_count:     31
    .vgpr_spill_count: 0
    .wavefront_size: 64
  - .args:
      - .address_space:  global
        .offset:         0
        .size:           8
        .value_kind:     global_buffer
      - .address_space:  global
        .offset:         8
        .size:           8
        .value_kind:     global_buffer
      - .offset:         16
        .size:           4
        .value_kind:     hidden_block_count_x
      - .offset:         20
        .size:           4
        .value_kind:     hidden_block_count_y
      - .offset:         24
        .size:           4
        .value_kind:     hidden_block_count_z
      - .offset:         28
        .size:           2
        .value_kind:     hidden_group_size_x
      - .offset:         30
        .size:           2
        .value_kind:     hidden_group_size_y
      - .offset:         32
        .size:           2
        .value_kind:     hidden_group_size_z
      - .offset:         34
        .size:           2
        .value_kind:     hidden_remainder_x
      - .offset:         36
        .size:           2
        .value_kind:     hidden_remainder_y
      - .offset:         38
        .size:           2
        .value_kind:     hidden_remainder_z
      - .offset:         56
        .size:           8
        .value_kind:     hidden_global_offset_x
      - .offset:         64
        .size:           8
        .value_kind:     hidden_global_offset_y
      - .offset:         72
        .size:           8
        .value_kind:     hidden_global_offset_z
      - .offset:         80
        .size:           2
        .value_kind:     hidden_grid_dims
    .group_segment_fixed_size: 6432
    .kernarg_segment_align: 8
    .kernarg_segment_size: 272
    .language:       OpenCL C
    .language_version:
      - 2
      - 0
    .max_flat_workgroup_size: 320
    .name:           _Z6kernelI9histogramILN6hipcub23BlockHistogramAlgorithmE1EEiLj320ELj2ELj320ELj100EEvPKT0_PS4_
    .private_segment_fixed_size: 0
    .sgpr_count:     46
    .sgpr_spill_count: 0
    .symbol:         _Z6kernelI9histogramILN6hipcub23BlockHistogramAlgorithmE1EEiLj320ELj2ELj320ELj100EEvPKT0_PS4_.kd
    .uniform_work_group_size: 1
    .uses_dynamic_stack: false
    .vgpr_count:     31
    .vgpr_spill_count: 0
    .wavefront_size: 64
  - .args:
      - .address_space:  global
        .offset:         0
        .size:           8
        .value_kind:     global_buffer
      - .address_space:  global
        .offset:         8
        .size:           8
        .value_kind:     global_buffer
      - .offset:         16
        .size:           4
        .value_kind:     hidden_block_count_x
      - .offset:         20
        .size:           4
        .value_kind:     hidden_block_count_y
      - .offset:         24
        .size:           4
        .value_kind:     hidden_block_count_z
      - .offset:         28
        .size:           2
        .value_kind:     hidden_group_size_x
      - .offset:         30
        .size:           2
        .value_kind:     hidden_group_size_y
      - .offset:         32
        .size:           2
        .value_kind:     hidden_group_size_z
      - .offset:         34
        .size:           2
        .value_kind:     hidden_remainder_x
      - .offset:         36
        .size:           2
        .value_kind:     hidden_remainder_y
      - .offset:         38
        .size:           2
        .value_kind:     hidden_remainder_z
      - .offset:         56
        .size:           8
        .value_kind:     hidden_global_offset_x
      - .offset:         64
        .size:           8
        .value_kind:     hidden_global_offset_y
      - .offset:         72
        .size:           8
        .value_kind:     hidden_global_offset_z
      - .offset:         80
        .size:           2
        .value_kind:     hidden_grid_dims
    .group_segment_fixed_size: 6432
    .kernarg_segment_align: 8
    .kernarg_segment_size: 272
    .language:       OpenCL C
    .language_version:
      - 2
      - 0
    .max_flat_workgroup_size: 320
    .name:           _Z6kernelI9histogramILN6hipcub23BlockHistogramAlgorithmE1EEiLj320ELj3ELj320ELj100EEvPKT0_PS4_
    .private_segment_fixed_size: 0
    .sgpr_count:     44
    .sgpr_spill_count: 0
    .symbol:         _Z6kernelI9histogramILN6hipcub23BlockHistogramAlgorithmE1EEiLj320ELj3ELj320ELj100EEvPKT0_PS4_.kd
    .uniform_work_group_size: 1
    .uses_dynamic_stack: false
    .vgpr_count:     35
    .vgpr_spill_count: 0
    .wavefront_size: 64
  - .args:
      - .address_space:  global
        .offset:         0
        .size:           8
        .value_kind:     global_buffer
      - .address_space:  global
        .offset:         8
        .size:           8
        .value_kind:     global_buffer
      - .offset:         16
        .size:           4
        .value_kind:     hidden_block_count_x
      - .offset:         20
        .size:           4
        .value_kind:     hidden_block_count_y
      - .offset:         24
        .size:           4
        .value_kind:     hidden_block_count_z
      - .offset:         28
        .size:           2
        .value_kind:     hidden_group_size_x
      - .offset:         30
        .size:           2
        .value_kind:     hidden_group_size_y
      - .offset:         32
        .size:           2
        .value_kind:     hidden_group_size_z
      - .offset:         34
        .size:           2
        .value_kind:     hidden_remainder_x
      - .offset:         36
        .size:           2
        .value_kind:     hidden_remainder_y
      - .offset:         38
        .size:           2
        .value_kind:     hidden_remainder_z
      - .offset:         56
        .size:           8
        .value_kind:     hidden_global_offset_x
      - .offset:         64
        .size:           8
        .value_kind:     hidden_global_offset_y
      - .offset:         72
        .size:           8
        .value_kind:     hidden_global_offset_z
      - .offset:         80
        .size:           2
        .value_kind:     hidden_grid_dims
    .group_segment_fixed_size: 6560
    .kernarg_segment_align: 8
    .kernarg_segment_size: 272
    .language:       OpenCL C
    .language_version:
      - 2
      - 0
    .max_flat_workgroup_size: 320
    .name:           _Z6kernelI9histogramILN6hipcub23BlockHistogramAlgorithmE1EEiLj320ELj4ELj320ELj100EEvPKT0_PS4_
    .private_segment_fixed_size: 0
    .sgpr_count:     52
    .sgpr_spill_count: 0
    .symbol:         _Z6kernelI9histogramILN6hipcub23BlockHistogramAlgorithmE1EEiLj320ELj4ELj320ELj100EEvPKT0_PS4_.kd
    .uniform_work_group_size: 1
    .uses_dynamic_stack: false
    .vgpr_count:     47
    .vgpr_spill_count: 0
    .wavefront_size: 64
  - .args:
      - .address_space:  global
        .offset:         0
        .size:           8
        .value_kind:     global_buffer
      - .address_space:  global
        .offset:         8
        .size:           8
        .value_kind:     global_buffer
      - .offset:         16
        .size:           4
        .value_kind:     hidden_block_count_x
      - .offset:         20
        .size:           4
        .value_kind:     hidden_block_count_y
      - .offset:         24
        .size:           4
        .value_kind:     hidden_block_count_z
      - .offset:         28
        .size:           2
        .value_kind:     hidden_group_size_x
      - .offset:         30
        .size:           2
        .value_kind:     hidden_group_size_y
      - .offset:         32
        .size:           2
        .value_kind:     hidden_group_size_z
      - .offset:         34
        .size:           2
        .value_kind:     hidden_remainder_x
      - .offset:         36
        .size:           2
        .value_kind:     hidden_remainder_y
      - .offset:         38
        .size:           2
        .value_kind:     hidden_remainder_z
      - .offset:         56
        .size:           8
        .value_kind:     hidden_global_offset_x
      - .offset:         64
        .size:           8
        .value_kind:     hidden_global_offset_y
      - .offset:         72
        .size:           8
        .value_kind:     hidden_global_offset_z
      - .offset:         80
        .size:           2
        .value_kind:     hidden_grid_dims
    .group_segment_fixed_size: 11840
    .kernarg_segment_align: 8
    .kernarg_segment_size: 272
    .language:       OpenCL C
    .language_version:
      - 2
      - 0
    .max_flat_workgroup_size: 320
    .name:           _Z6kernelI9histogramILN6hipcub23BlockHistogramAlgorithmE1EEiLj320ELj8ELj320ELj100EEvPKT0_PS4_
    .private_segment_fixed_size: 0
    .sgpr_count:     44
    .sgpr_spill_count: 0
    .symbol:         _Z6kernelI9histogramILN6hipcub23BlockHistogramAlgorithmE1EEiLj320ELj8ELj320ELj100EEvPKT0_PS4_.kd
    .uniform_work_group_size: 1
    .uses_dynamic_stack: false
    .vgpr_count:     68
    .vgpr_spill_count: 0
    .wavefront_size: 64
  - .args:
      - .address_space:  global
        .offset:         0
        .size:           8
        .value_kind:     global_buffer
      - .address_space:  global
        .offset:         8
        .size:           8
        .value_kind:     global_buffer
      - .offset:         16
        .size:           4
        .value_kind:     hidden_block_count_x
      - .offset:         20
        .size:           4
        .value_kind:     hidden_block_count_y
      - .offset:         24
        .size:           4
        .value_kind:     hidden_block_count_z
      - .offset:         28
        .size:           2
        .value_kind:     hidden_group_size_x
      - .offset:         30
        .size:           2
        .value_kind:     hidden_group_size_y
      - .offset:         32
        .size:           2
        .value_kind:     hidden_group_size_z
      - .offset:         34
        .size:           2
        .value_kind:     hidden_remainder_x
      - .offset:         36
        .size:           2
        .value_kind:     hidden_remainder_y
      - .offset:         38
        .size:           2
        .value_kind:     hidden_remainder_z
      - .offset:         56
        .size:           8
        .value_kind:     hidden_global_offset_x
      - .offset:         64
        .size:           8
        .value_kind:     hidden_global_offset_y
      - .offset:         72
        .size:           8
        .value_kind:     hidden_global_offset_z
      - .offset:         80
        .size:           2
        .value_kind:     hidden_grid_dims
    .group_segment_fixed_size: 22400
    .kernarg_segment_align: 8
    .kernarg_segment_size: 272
    .language:       OpenCL C
    .language_version:
      - 2
      - 0
    .max_flat_workgroup_size: 320
    .name:           _Z6kernelI9histogramILN6hipcub23BlockHistogramAlgorithmE1EEiLj320ELj16ELj320ELj100EEvPKT0_PS4_
    .private_segment_fixed_size: 0
    .sgpr_count:     46
    .sgpr_spill_count: 0
    .symbol:         _Z6kernelI9histogramILN6hipcub23BlockHistogramAlgorithmE1EEiLj320ELj16ELj320ELj100EEvPKT0_PS4_.kd
    .uniform_work_group_size: 1
    .uses_dynamic_stack: false
    .vgpr_count:     114
    .vgpr_spill_count: 0
    .wavefront_size: 64
  - .args:
      - .address_space:  global
        .offset:         0
        .size:           8
        .value_kind:     global_buffer
      - .address_space:  global
        .offset:         8
        .size:           8
        .value_kind:     global_buffer
      - .offset:         16
        .size:           4
        .value_kind:     hidden_block_count_x
      - .offset:         20
        .size:           4
        .value_kind:     hidden_block_count_y
      - .offset:         24
        .size:           4
        .value_kind:     hidden_block_count_z
      - .offset:         28
        .size:           2
        .value_kind:     hidden_group_size_x
      - .offset:         30
        .size:           2
        .value_kind:     hidden_group_size_y
      - .offset:         32
        .size:           2
        .value_kind:     hidden_group_size_z
      - .offset:         34
        .size:           2
        .value_kind:     hidden_remainder_x
      - .offset:         36
        .size:           2
        .value_kind:     hidden_remainder_y
      - .offset:         38
        .size:           2
        .value_kind:     hidden_remainder_z
      - .offset:         56
        .size:           8
        .value_kind:     hidden_global_offset_x
      - .offset:         64
        .size:           8
        .value_kind:     hidden_global_offset_y
      - .offset:         72
        .size:           8
        .value_kind:     hidden_global_offset_z
      - .offset:         80
        .size:           2
        .value_kind:     hidden_grid_dims
    .group_segment_fixed_size: 10272
    .kernarg_segment_align: 8
    .kernarg_segment_size: 272
    .language:       OpenCL C
    .language_version:
      - 2
      - 0
    .max_flat_workgroup_size: 512
    .name:           _Z6kernelI9histogramILN6hipcub23BlockHistogramAlgorithmE1EEiLj512ELj1ELj512ELj100EEvPKT0_PS4_
    .private_segment_fixed_size: 0
    .sgpr_count:     47
    .sgpr_spill_count: 0
    .symbol:         _Z6kernelI9histogramILN6hipcub23BlockHistogramAlgorithmE1EEiLj512ELj1ELj512ELj100EEvPKT0_PS4_.kd
    .uniform_work_group_size: 1
    .uses_dynamic_stack: false
    .vgpr_count:     35
    .vgpr_spill_count: 0
    .wavefront_size: 64
  - .args:
      - .address_space:  global
        .offset:         0
        .size:           8
        .value_kind:     global_buffer
      - .address_space:  global
        .offset:         8
        .size:           8
        .value_kind:     global_buffer
      - .offset:         16
        .size:           4
        .value_kind:     hidden_block_count_x
      - .offset:         20
        .size:           4
        .value_kind:     hidden_block_count_y
      - .offset:         24
        .size:           4
        .value_kind:     hidden_block_count_z
      - .offset:         28
        .size:           2
        .value_kind:     hidden_group_size_x
      - .offset:         30
        .size:           2
        .value_kind:     hidden_group_size_y
      - .offset:         32
        .size:           2
        .value_kind:     hidden_group_size_z
      - .offset:         34
        .size:           2
        .value_kind:     hidden_remainder_x
      - .offset:         36
        .size:           2
        .value_kind:     hidden_remainder_y
      - .offset:         38
        .size:           2
        .value_kind:     hidden_remainder_z
      - .offset:         56
        .size:           8
        .value_kind:     hidden_global_offset_x
      - .offset:         64
        .size:           8
        .value_kind:     hidden_global_offset_y
      - .offset:         72
        .size:           8
        .value_kind:     hidden_global_offset_z
      - .offset:         80
        .size:           2
        .value_kind:     hidden_grid_dims
    .group_segment_fixed_size: 10272
    .kernarg_segment_align: 8
    .kernarg_segment_size: 272
    .language:       OpenCL C
    .language_version:
      - 2
      - 0
    .max_flat_workgroup_size: 512
    .name:           _Z6kernelI9histogramILN6hipcub23BlockHistogramAlgorithmE1EEiLj512ELj2ELj512ELj100EEvPKT0_PS4_
    .private_segment_fixed_size: 0
    .sgpr_count:     50
    .sgpr_spill_count: 0
    .symbol:         _Z6kernelI9histogramILN6hipcub23BlockHistogramAlgorithmE1EEiLj512ELj2ELj512ELj100EEvPKT0_PS4_.kd
    .uniform_work_group_size: 1
    .uses_dynamic_stack: false
    .vgpr_count:     35
    .vgpr_spill_count: 0
    .wavefront_size: 64
  - .args:
      - .address_space:  global
        .offset:         0
        .size:           8
        .value_kind:     global_buffer
      - .address_space:  global
        .offset:         8
        .size:           8
        .value_kind:     global_buffer
      - .offset:         16
        .size:           4
        .value_kind:     hidden_block_count_x
      - .offset:         20
        .size:           4
        .value_kind:     hidden_block_count_y
      - .offset:         24
        .size:           4
        .value_kind:     hidden_block_count_z
      - .offset:         28
        .size:           2
        .value_kind:     hidden_group_size_x
      - .offset:         30
        .size:           2
        .value_kind:     hidden_group_size_y
      - .offset:         32
        .size:           2
        .value_kind:     hidden_group_size_z
      - .offset:         34
        .size:           2
        .value_kind:     hidden_remainder_x
      - .offset:         36
        .size:           2
        .value_kind:     hidden_remainder_y
      - .offset:         38
        .size:           2
        .value_kind:     hidden_remainder_z
      - .offset:         56
        .size:           8
        .value_kind:     hidden_global_offset_x
      - .offset:         64
        .size:           8
        .value_kind:     hidden_global_offset_y
      - .offset:         72
        .size:           8
        .value_kind:     hidden_global_offset_z
      - .offset:         80
        .size:           2
        .value_kind:     hidden_grid_dims
    .group_segment_fixed_size: 10272
    .kernarg_segment_align: 8
    .kernarg_segment_size: 272
    .language:       OpenCL C
    .language_version:
      - 2
      - 0
    .max_flat_workgroup_size: 512
    .name:           _Z6kernelI9histogramILN6hipcub23BlockHistogramAlgorithmE1EEiLj512ELj3ELj512ELj100EEvPKT0_PS4_
    .private_segment_fixed_size: 0
    .sgpr_count:     46
    .sgpr_spill_count: 0
    .symbol:         _Z6kernelI9histogramILN6hipcub23BlockHistogramAlgorithmE1EEiLj512ELj3ELj512ELj100EEvPKT0_PS4_.kd
    .uniform_work_group_size: 1
    .uses_dynamic_stack: false
    .vgpr_count:     39
    .vgpr_spill_count: 0
    .wavefront_size: 64
  - .args:
      - .address_space:  global
        .offset:         0
        .size:           8
        .value_kind:     global_buffer
      - .address_space:  global
        .offset:         8
        .size:           8
        .value_kind:     global_buffer
      - .offset:         16
        .size:           4
        .value_kind:     hidden_block_count_x
      - .offset:         20
        .size:           4
        .value_kind:     hidden_block_count_y
      - .offset:         24
        .size:           4
        .value_kind:     hidden_block_count_z
      - .offset:         28
        .size:           2
        .value_kind:     hidden_group_size_x
      - .offset:         30
        .size:           2
        .value_kind:     hidden_group_size_y
      - .offset:         32
        .size:           2
        .value_kind:     hidden_group_size_z
      - .offset:         34
        .size:           2
        .value_kind:     hidden_remainder_x
      - .offset:         36
        .size:           2
        .value_kind:     hidden_remainder_y
      - .offset:         38
        .size:           2
        .value_kind:     hidden_remainder_z
      - .offset:         56
        .size:           8
        .value_kind:     hidden_global_offset_x
      - .offset:         64
        .size:           8
        .value_kind:     hidden_global_offset_y
      - .offset:         72
        .size:           8
        .value_kind:     hidden_global_offset_z
      - .offset:         80
        .size:           2
        .value_kind:     hidden_grid_dims
    .group_segment_fixed_size: 10272
    .kernarg_segment_align: 8
    .kernarg_segment_size: 272
    .language:       OpenCL C
    .language_version:
      - 2
      - 0
    .max_flat_workgroup_size: 512
    .name:           _Z6kernelI9histogramILN6hipcub23BlockHistogramAlgorithmE1EEiLj512ELj4ELj512ELj100EEvPKT0_PS4_
    .private_segment_fixed_size: 0
    .sgpr_count:     56
    .sgpr_spill_count: 0
    .symbol:         _Z6kernelI9histogramILN6hipcub23BlockHistogramAlgorithmE1EEiLj512ELj4ELj512ELj100EEvPKT0_PS4_.kd
    .uniform_work_group_size: 1
    .uses_dynamic_stack: false
    .vgpr_count:     47
    .vgpr_spill_count: 0
    .wavefront_size: 64
  - .args:
      - .address_space:  global
        .offset:         0
        .size:           8
        .value_kind:     global_buffer
      - .address_space:  global
        .offset:         8
        .size:           8
        .value_kind:     global_buffer
      - .offset:         16
        .size:           4
        .value_kind:     hidden_block_count_x
      - .offset:         20
        .size:           4
        .value_kind:     hidden_block_count_y
      - .offset:         24
        .size:           4
        .value_kind:     hidden_block_count_z
      - .offset:         28
        .size:           2
        .value_kind:     hidden_group_size_x
      - .offset:         30
        .size:           2
        .value_kind:     hidden_group_size_y
      - .offset:         32
        .size:           2
        .value_kind:     hidden_group_size_z
      - .offset:         34
        .size:           2
        .value_kind:     hidden_remainder_x
      - .offset:         36
        .size:           2
        .value_kind:     hidden_remainder_y
      - .offset:         38
        .size:           2
        .value_kind:     hidden_remainder_z
      - .offset:         56
        .size:           8
        .value_kind:     hidden_global_offset_x
      - .offset:         64
        .size:           8
        .value_kind:     hidden_global_offset_y
      - .offset:         72
        .size:           8
        .value_kind:     hidden_global_offset_z
      - .offset:         80
        .size:           2
        .value_kind:     hidden_grid_dims
    .group_segment_fixed_size: 18432
    .kernarg_segment_align: 8
    .kernarg_segment_size: 272
    .language:       OpenCL C
    .language_version:
      - 2
      - 0
    .max_flat_workgroup_size: 512
    .name:           _Z6kernelI9histogramILN6hipcub23BlockHistogramAlgorithmE1EEiLj512ELj8ELj512ELj100EEvPKT0_PS4_
    .private_segment_fixed_size: 0
    .sgpr_count:     48
    .sgpr_spill_count: 0
    .symbol:         _Z6kernelI9histogramILN6hipcub23BlockHistogramAlgorithmE1EEiLj512ELj8ELj512ELj100EEvPKT0_PS4_.kd
    .uniform_work_group_size: 1
    .uses_dynamic_stack: false
    .vgpr_count:     63
    .vgpr_spill_count: 0
    .wavefront_size: 64
  - .args:
      - .address_space:  global
        .offset:         0
        .size:           8
        .value_kind:     global_buffer
      - .address_space:  global
        .offset:         8
        .size:           8
        .value_kind:     global_buffer
      - .offset:         16
        .size:           4
        .value_kind:     hidden_block_count_x
      - .offset:         20
        .size:           4
        .value_kind:     hidden_block_count_y
      - .offset:         24
        .size:           4
        .value_kind:     hidden_block_count_z
      - .offset:         28
        .size:           2
        .value_kind:     hidden_group_size_x
      - .offset:         30
        .size:           2
        .value_kind:     hidden_group_size_y
      - .offset:         32
        .size:           2
        .value_kind:     hidden_group_size_z
      - .offset:         34
        .size:           2
        .value_kind:     hidden_remainder_x
      - .offset:         36
        .size:           2
        .value_kind:     hidden_remainder_y
      - .offset:         38
        .size:           2
        .value_kind:     hidden_remainder_z
      - .offset:         56
        .size:           8
        .value_kind:     hidden_global_offset_x
      - .offset:         64
        .size:           8
        .value_kind:     hidden_global_offset_y
      - .offset:         72
        .size:           8
        .value_kind:     hidden_global_offset_z
      - .offset:         80
        .size:           2
        .value_kind:     hidden_grid_dims
    .group_segment_fixed_size: 34816
    .kernarg_segment_align: 8
    .kernarg_segment_size: 272
    .language:       OpenCL C
    .language_version:
      - 2
      - 0
    .max_flat_workgroup_size: 512
    .name:           _Z6kernelI9histogramILN6hipcub23BlockHistogramAlgorithmE1EEiLj512ELj16ELj512ELj100EEvPKT0_PS4_
    .private_segment_fixed_size: 0
    .sgpr_count:     48
    .sgpr_spill_count: 0
    .symbol:         _Z6kernelI9histogramILN6hipcub23BlockHistogramAlgorithmE1EEiLj512ELj16ELj512ELj100EEvPKT0_PS4_.kd
    .uniform_work_group_size: 1
    .uses_dynamic_stack: false
    .vgpr_count:     105
    .vgpr_spill_count: 0
    .wavefront_size: 64
  - .args:
      - .address_space:  global
        .offset:         0
        .size:           8
        .value_kind:     global_buffer
      - .address_space:  global
        .offset:         8
        .size:           8
        .value_kind:     global_buffer
      - .offset:         16
        .size:           4
        .value_kind:     hidden_block_count_x
      - .offset:         20
        .size:           4
        .value_kind:     hidden_block_count_y
      - .offset:         24
        .size:           4
        .value_kind:     hidden_block_count_z
      - .offset:         28
        .size:           2
        .value_kind:     hidden_group_size_x
      - .offset:         30
        .size:           2
        .value_kind:     hidden_group_size_y
      - .offset:         32
        .size:           2
        .value_kind:     hidden_group_size_z
      - .offset:         34
        .size:           2
        .value_kind:     hidden_remainder_x
      - .offset:         36
        .size:           2
        .value_kind:     hidden_remainder_y
      - .offset:         38
        .size:           2
        .value_kind:     hidden_remainder_z
      - .offset:         56
        .size:           8
        .value_kind:     hidden_global_offset_x
      - .offset:         64
        .size:           8
        .value_kind:     hidden_global_offset_y
      - .offset:         72
        .size:           8
        .value_kind:     hidden_global_offset_z
      - .offset:         80
        .size:           2
        .value_kind:     hidden_grid_dims
    .group_segment_fixed_size: 8192
    .kernarg_segment_align: 8
    .kernarg_segment_size: 272
    .language:       OpenCL C
    .language_version:
      - 2
      - 0
    .max_flat_workgroup_size: 256
    .name:           _Z6kernelI9histogramILN6hipcub23BlockHistogramAlgorithmE1EEyLj256ELj1ELj256ELj100EEvPKT0_PS4_
    .private_segment_fixed_size: 0
    .sgpr_count:     44
    .sgpr_spill_count: 0
    .symbol:         _Z6kernelI9histogramILN6hipcub23BlockHistogramAlgorithmE1EEyLj256ELj1ELj256ELj100EEvPKT0_PS4_.kd
    .uniform_work_group_size: 1
    .uses_dynamic_stack: false
    .vgpr_count:     31
    .vgpr_spill_count: 0
    .wavefront_size: 64
  - .args:
      - .address_space:  global
        .offset:         0
        .size:           8
        .value_kind:     global_buffer
      - .address_space:  global
        .offset:         8
        .size:           8
        .value_kind:     global_buffer
      - .offset:         16
        .size:           4
        .value_kind:     hidden_block_count_x
      - .offset:         20
        .size:           4
        .value_kind:     hidden_block_count_y
      - .offset:         24
        .size:           4
        .value_kind:     hidden_block_count_z
      - .offset:         28
        .size:           2
        .value_kind:     hidden_group_size_x
      - .offset:         30
        .size:           2
        .value_kind:     hidden_group_size_y
      - .offset:         32
        .size:           2
        .value_kind:     hidden_group_size_z
      - .offset:         34
        .size:           2
        .value_kind:     hidden_remainder_x
      - .offset:         36
        .size:           2
        .value_kind:     hidden_remainder_y
      - .offset:         38
        .size:           2
        .value_kind:     hidden_remainder_z
      - .offset:         56
        .size:           8
        .value_kind:     hidden_global_offset_x
      - .offset:         64
        .size:           8
        .value_kind:     hidden_global_offset_y
      - .offset:         72
        .size:           8
        .value_kind:     hidden_global_offset_z
      - .offset:         80
        .size:           2
        .value_kind:     hidden_grid_dims
    .group_segment_fixed_size: 8192
    .kernarg_segment_align: 8
    .kernarg_segment_size: 272
    .language:       OpenCL C
    .language_version:
      - 2
      - 0
    .max_flat_workgroup_size: 256
    .name:           _Z6kernelI9histogramILN6hipcub23BlockHistogramAlgorithmE1EEyLj256ELj2ELj256ELj100EEvPKT0_PS4_
    .private_segment_fixed_size: 0
    .sgpr_count:     48
    .sgpr_spill_count: 0
    .symbol:         _Z6kernelI9histogramILN6hipcub23BlockHistogramAlgorithmE1EEyLj256ELj2ELj256ELj100EEvPKT0_PS4_.kd
    .uniform_work_group_size: 1
    .uses_dynamic_stack: false
    .vgpr_count:     39
    .vgpr_spill_count: 0
    .wavefront_size: 64
  - .args:
      - .address_space:  global
        .offset:         0
        .size:           8
        .value_kind:     global_buffer
      - .address_space:  global
        .offset:         8
        .size:           8
        .value_kind:     global_buffer
      - .offset:         16
        .size:           4
        .value_kind:     hidden_block_count_x
      - .offset:         20
        .size:           4
        .value_kind:     hidden_block_count_y
      - .offset:         24
        .size:           4
        .value_kind:     hidden_block_count_z
      - .offset:         28
        .size:           2
        .value_kind:     hidden_group_size_x
      - .offset:         30
        .size:           2
        .value_kind:     hidden_group_size_y
      - .offset:         32
        .size:           2
        .value_kind:     hidden_group_size_z
      - .offset:         34
        .size:           2
        .value_kind:     hidden_remainder_x
      - .offset:         36
        .size:           2
        .value_kind:     hidden_remainder_y
      - .offset:         38
        .size:           2
        .value_kind:     hidden_remainder_z
      - .offset:         56
        .size:           8
        .value_kind:     hidden_global_offset_x
      - .offset:         64
        .size:           8
        .value_kind:     hidden_global_offset_y
      - .offset:         72
        .size:           8
        .value_kind:     hidden_global_offset_z
      - .offset:         80
        .size:           2
        .value_kind:     hidden_grid_dims
    .group_segment_fixed_size: 8192
    .kernarg_segment_align: 8
    .kernarg_segment_size: 272
    .language:       OpenCL C
    .language_version:
      - 2
      - 0
    .max_flat_workgroup_size: 256
    .name:           _Z6kernelI9histogramILN6hipcub23BlockHistogramAlgorithmE1EEyLj256ELj3ELj256ELj100EEvPKT0_PS4_
    .private_segment_fixed_size: 0
    .sgpr_count:     44
    .sgpr_spill_count: 0
    .symbol:         _Z6kernelI9histogramILN6hipcub23BlockHistogramAlgorithmE1EEyLj256ELj3ELj256ELj100EEvPKT0_PS4_.kd
    .uniform_work_group_size: 1
    .uses_dynamic_stack: false
    .vgpr_count:     46
    .vgpr_spill_count: 0
    .wavefront_size: 64
  - .args:
      - .address_space:  global
        .offset:         0
        .size:           8
        .value_kind:     global_buffer
      - .address_space:  global
        .offset:         8
        .size:           8
        .value_kind:     global_buffer
      - .offset:         16
        .size:           4
        .value_kind:     hidden_block_count_x
      - .offset:         20
        .size:           4
        .value_kind:     hidden_block_count_y
      - .offset:         24
        .size:           4
        .value_kind:     hidden_block_count_z
      - .offset:         28
        .size:           2
        .value_kind:     hidden_group_size_x
      - .offset:         30
        .size:           2
        .value_kind:     hidden_group_size_y
      - .offset:         32
        .size:           2
        .value_kind:     hidden_group_size_z
      - .offset:         34
        .size:           2
        .value_kind:     hidden_remainder_x
      - .offset:         36
        .size:           2
        .value_kind:     hidden_remainder_y
      - .offset:         38
        .size:           2
        .value_kind:     hidden_remainder_z
      - .offset:         56
        .size:           8
        .value_kind:     hidden_global_offset_x
      - .offset:         64
        .size:           8
        .value_kind:     hidden_global_offset_y
      - .offset:         72
        .size:           8
        .value_kind:     hidden_global_offset_z
      - .offset:         80
        .size:           2
        .value_kind:     hidden_grid_dims
    .group_segment_fixed_size: 10240
    .kernarg_segment_align: 8
    .kernarg_segment_size: 272
    .language:       OpenCL C
    .language_version:
      - 2
      - 0
    .max_flat_workgroup_size: 256
    .name:           _Z6kernelI9histogramILN6hipcub23BlockHistogramAlgorithmE1EEyLj256ELj4ELj256ELj100EEvPKT0_PS4_
    .private_segment_fixed_size: 0
    .sgpr_count:     52
    .sgpr_spill_count: 0
    .symbol:         _Z6kernelI9histogramILN6hipcub23BlockHistogramAlgorithmE1EEyLj256ELj4ELj256ELj100EEvPKT0_PS4_.kd
    .uniform_work_group_size: 1
    .uses_dynamic_stack: false
    .vgpr_count:     54
    .vgpr_spill_count: 0
    .wavefront_size: 64
  - .args:
      - .address_space:  global
        .offset:         0
        .size:           8
        .value_kind:     global_buffer
      - .address_space:  global
        .offset:         8
        .size:           8
        .value_kind:     global_buffer
      - .offset:         16
        .size:           4
        .value_kind:     hidden_block_count_x
      - .offset:         20
        .size:           4
        .value_kind:     hidden_block_count_y
      - .offset:         24
        .size:           4
        .value_kind:     hidden_block_count_z
      - .offset:         28
        .size:           2
        .value_kind:     hidden_group_size_x
      - .offset:         30
        .size:           2
        .value_kind:     hidden_group_size_y
      - .offset:         32
        .size:           2
        .value_kind:     hidden_group_size_z
      - .offset:         34
        .size:           2
        .value_kind:     hidden_remainder_x
      - .offset:         36
        .size:           2
        .value_kind:     hidden_remainder_y
      - .offset:         38
        .size:           2
        .value_kind:     hidden_remainder_z
      - .offset:         56
        .size:           8
        .value_kind:     hidden_global_offset_x
      - .offset:         64
        .size:           8
        .value_kind:     hidden_global_offset_y
      - .offset:         72
        .size:           8
        .value_kind:     hidden_global_offset_z
      - .offset:         80
        .size:           2
        .value_kind:     hidden_grid_dims
    .group_segment_fixed_size: 18432
    .kernarg_segment_align: 8
    .kernarg_segment_size: 272
    .language:       OpenCL C
    .language_version:
      - 2
      - 0
    .max_flat_workgroup_size: 256
    .name:           _Z6kernelI9histogramILN6hipcub23BlockHistogramAlgorithmE1EEyLj256ELj8ELj256ELj100EEvPKT0_PS4_
    .private_segment_fixed_size: 0
    .sgpr_count:     46
    .sgpr_spill_count: 0
    .symbol:         _Z6kernelI9histogramILN6hipcub23BlockHistogramAlgorithmE1EEyLj256ELj8ELj256ELj100EEvPKT0_PS4_.kd
    .uniform_work_group_size: 1
    .uses_dynamic_stack: false
    .vgpr_count:     75
    .vgpr_spill_count: 0
    .wavefront_size: 64
  - .args:
      - .address_space:  global
        .offset:         0
        .size:           8
        .value_kind:     global_buffer
      - .address_space:  global
        .offset:         8
        .size:           8
        .value_kind:     global_buffer
      - .offset:         16
        .size:           4
        .value_kind:     hidden_block_count_x
      - .offset:         20
        .size:           4
        .value_kind:     hidden_block_count_y
      - .offset:         24
        .size:           4
        .value_kind:     hidden_block_count_z
      - .offset:         28
        .size:           2
        .value_kind:     hidden_group_size_x
      - .offset:         30
        .size:           2
        .value_kind:     hidden_group_size_y
      - .offset:         32
        .size:           2
        .value_kind:     hidden_group_size_z
      - .offset:         34
        .size:           2
        .value_kind:     hidden_remainder_x
      - .offset:         36
        .size:           2
        .value_kind:     hidden_remainder_y
      - .offset:         38
        .size:           2
        .value_kind:     hidden_remainder_z
      - .offset:         56
        .size:           8
        .value_kind:     hidden_global_offset_x
      - .offset:         64
        .size:           8
        .value_kind:     hidden_global_offset_y
      - .offset:         72
        .size:           8
        .value_kind:     hidden_global_offset_z
      - .offset:         80
        .size:           2
        .value_kind:     hidden_grid_dims
    .group_segment_fixed_size: 34816
    .kernarg_segment_align: 8
    .kernarg_segment_size: 272
    .language:       OpenCL C
    .language_version:
      - 2
      - 0
    .max_flat_workgroup_size: 256
    .name:           _Z6kernelI9histogramILN6hipcub23BlockHistogramAlgorithmE1EEyLj256ELj16ELj256ELj100EEvPKT0_PS4_
    .private_segment_fixed_size: 0
    .sgpr_count:     46
    .sgpr_spill_count: 0
    .symbol:         _Z6kernelI9histogramILN6hipcub23BlockHistogramAlgorithmE1EEyLj256ELj16ELj256ELj100EEvPKT0_PS4_.kd
    .uniform_work_group_size: 1
    .uses_dynamic_stack: false
    .vgpr_count:     128
    .vgpr_spill_count: 0
    .wavefront_size: 64
  - .args:
      - .address_space:  global
        .offset:         0
        .size:           8
        .value_kind:     global_buffer
      - .address_space:  global
        .offset:         8
        .size:           8
        .value_kind:     global_buffer
      - .offset:         16
        .size:           4
        .value_kind:     hidden_block_count_x
      - .offset:         20
        .size:           4
        .value_kind:     hidden_block_count_y
      - .offset:         24
        .size:           4
        .value_kind:     hidden_block_count_z
      - .offset:         28
        .size:           2
        .value_kind:     hidden_group_size_x
      - .offset:         30
        .size:           2
        .value_kind:     hidden_group_size_y
      - .offset:         32
        .size:           2
        .value_kind:     hidden_group_size_z
      - .offset:         34
        .size:           2
        .value_kind:     hidden_remainder_x
      - .offset:         36
        .size:           2
        .value_kind:     hidden_remainder_y
      - .offset:         38
        .size:           2
        .value_kind:     hidden_remainder_z
      - .offset:         56
        .size:           8
        .value_kind:     hidden_global_offset_x
      - .offset:         64
        .size:           8
        .value_kind:     hidden_global_offset_y
      - .offset:         72
        .size:           8
        .value_kind:     hidden_global_offset_z
      - .offset:         80
        .size:           2
        .value_kind:     hidden_grid_dims
    .group_segment_fixed_size: 10240
    .kernarg_segment_align: 8
    .kernarg_segment_size: 272
    .language:       OpenCL C
    .language_version:
      - 2
      - 0
    .max_flat_workgroup_size: 320
    .name:           _Z6kernelI9histogramILN6hipcub23BlockHistogramAlgorithmE1EEyLj320ELj1ELj320ELj100EEvPKT0_PS4_
    .private_segment_fixed_size: 0
    .sgpr_count:     44
    .sgpr_spill_count: 0
    .symbol:         _Z6kernelI9histogramILN6hipcub23BlockHistogramAlgorithmE1EEyLj320ELj1ELj320ELj100EEvPKT0_PS4_.kd
    .uniform_work_group_size: 1
    .uses_dynamic_stack: false
    .vgpr_count:     29
    .vgpr_spill_count: 0
    .wavefront_size: 64
  - .args:
      - .address_space:  global
        .offset:         0
        .size:           8
        .value_kind:     global_buffer
      - .address_space:  global
        .offset:         8
        .size:           8
        .value_kind:     global_buffer
      - .offset:         16
        .size:           4
        .value_kind:     hidden_block_count_x
      - .offset:         20
        .size:           4
        .value_kind:     hidden_block_count_y
      - .offset:         24
        .size:           4
        .value_kind:     hidden_block_count_z
      - .offset:         28
        .size:           2
        .value_kind:     hidden_group_size_x
      - .offset:         30
        .size:           2
        .value_kind:     hidden_group_size_y
      - .offset:         32
        .size:           2
        .value_kind:     hidden_group_size_z
      - .offset:         34
        .size:           2
        .value_kind:     hidden_remainder_x
      - .offset:         36
        .size:           2
        .value_kind:     hidden_remainder_y
      - .offset:         38
        .size:           2
        .value_kind:     hidden_remainder_z
      - .offset:         56
        .size:           8
        .value_kind:     hidden_global_offset_x
      - .offset:         64
        .size:           8
        .value_kind:     hidden_global_offset_y
      - .offset:         72
        .size:           8
        .value_kind:     hidden_global_offset_z
      - .offset:         80
        .size:           2
        .value_kind:     hidden_grid_dims
    .group_segment_fixed_size: 10240
    .kernarg_segment_align: 8
    .kernarg_segment_size: 272
    .language:       OpenCL C
    .language_version:
      - 2
      - 0
    .max_flat_workgroup_size: 320
    .name:           _Z6kernelI9histogramILN6hipcub23BlockHistogramAlgorithmE1EEyLj320ELj2ELj320ELj100EEvPKT0_PS4_
    .private_segment_fixed_size: 0
    .sgpr_count:     46
    .sgpr_spill_count: 0
    .symbol:         _Z6kernelI9histogramILN6hipcub23BlockHistogramAlgorithmE1EEyLj320ELj2ELj320ELj100EEvPKT0_PS4_.kd
    .uniform_work_group_size: 1
    .uses_dynamic_stack: false
    .vgpr_count:     35
    .vgpr_spill_count: 0
    .wavefront_size: 64
  - .args:
      - .address_space:  global
        .offset:         0
        .size:           8
        .value_kind:     global_buffer
      - .address_space:  global
        .offset:         8
        .size:           8
        .value_kind:     global_buffer
      - .offset:         16
        .size:           4
        .value_kind:     hidden_block_count_x
      - .offset:         20
        .size:           4
        .value_kind:     hidden_block_count_y
      - .offset:         24
        .size:           4
        .value_kind:     hidden_block_count_z
      - .offset:         28
        .size:           2
        .value_kind:     hidden_group_size_x
      - .offset:         30
        .size:           2
        .value_kind:     hidden_group_size_y
      - .offset:         32
        .size:           2
        .value_kind:     hidden_group_size_z
      - .offset:         34
        .size:           2
        .value_kind:     hidden_remainder_x
      - .offset:         36
        .size:           2
        .value_kind:     hidden_remainder_y
      - .offset:         38
        .size:           2
        .value_kind:     hidden_remainder_z
      - .offset:         56
        .size:           8
        .value_kind:     hidden_global_offset_x
      - .offset:         64
        .size:           8
        .value_kind:     hidden_global_offset_y
      - .offset:         72
        .size:           8
        .value_kind:     hidden_global_offset_z
      - .offset:         80
        .size:           2
        .value_kind:     hidden_grid_dims
    .group_segment_fixed_size: 10240
    .kernarg_segment_align: 8
    .kernarg_segment_size: 272
    .language:       OpenCL C
    .language_version:
      - 2
      - 0
    .max_flat_workgroup_size: 320
    .name:           _Z6kernelI9histogramILN6hipcub23BlockHistogramAlgorithmE1EEyLj320ELj3ELj320ELj100EEvPKT0_PS4_
    .private_segment_fixed_size: 0
    .sgpr_count:     44
    .sgpr_spill_count: 0
    .symbol:         _Z6kernelI9histogramILN6hipcub23BlockHistogramAlgorithmE1EEyLj320ELj3ELj320ELj100EEvPKT0_PS4_.kd
    .uniform_work_group_size: 1
    .uses_dynamic_stack: false
    .vgpr_count:     43
    .vgpr_spill_count: 0
    .wavefront_size: 64
  - .args:
      - .address_space:  global
        .offset:         0
        .size:           8
        .value_kind:     global_buffer
      - .address_space:  global
        .offset:         8
        .size:           8
        .value_kind:     global_buffer
      - .offset:         16
        .size:           4
        .value_kind:     hidden_block_count_x
      - .offset:         20
        .size:           4
        .value_kind:     hidden_block_count_y
      - .offset:         24
        .size:           4
        .value_kind:     hidden_block_count_z
      - .offset:         28
        .size:           2
        .value_kind:     hidden_group_size_x
      - .offset:         30
        .size:           2
        .value_kind:     hidden_group_size_y
      - .offset:         32
        .size:           2
        .value_kind:     hidden_group_size_z
      - .offset:         34
        .size:           2
        .value_kind:     hidden_remainder_x
      - .offset:         36
        .size:           2
        .value_kind:     hidden_remainder_y
      - .offset:         38
        .size:           2
        .value_kind:     hidden_remainder_z
      - .offset:         56
        .size:           8
        .value_kind:     hidden_global_offset_x
      - .offset:         64
        .size:           8
        .value_kind:     hidden_global_offset_y
      - .offset:         72
        .size:           8
        .value_kind:     hidden_global_offset_z
      - .offset:         80
        .size:           2
        .value_kind:     hidden_grid_dims
    .group_segment_fixed_size: 13120
    .kernarg_segment_align: 8
    .kernarg_segment_size: 272
    .language:       OpenCL C
    .language_version:
      - 2
      - 0
    .max_flat_workgroup_size: 320
    .name:           _Z6kernelI9histogramILN6hipcub23BlockHistogramAlgorithmE1EEyLj320ELj4ELj320ELj100EEvPKT0_PS4_
    .private_segment_fixed_size: 0
    .sgpr_count:     52
    .sgpr_spill_count: 0
    .symbol:         _Z6kernelI9histogramILN6hipcub23BlockHistogramAlgorithmE1EEyLj320ELj4ELj320ELj100EEvPKT0_PS4_.kd
    .uniform_work_group_size: 1
    .uses_dynamic_stack: false
    .vgpr_count:     54
    .vgpr_spill_count: 0
    .wavefront_size: 64
  - .args:
      - .address_space:  global
        .offset:         0
        .size:           8
        .value_kind:     global_buffer
      - .address_space:  global
        .offset:         8
        .size:           8
        .value_kind:     global_buffer
      - .offset:         16
        .size:           4
        .value_kind:     hidden_block_count_x
      - .offset:         20
        .size:           4
        .value_kind:     hidden_block_count_y
      - .offset:         24
        .size:           4
        .value_kind:     hidden_block_count_z
      - .offset:         28
        .size:           2
        .value_kind:     hidden_group_size_x
      - .offset:         30
        .size:           2
        .value_kind:     hidden_group_size_y
      - .offset:         32
        .size:           2
        .value_kind:     hidden_group_size_z
      - .offset:         34
        .size:           2
        .value_kind:     hidden_remainder_x
      - .offset:         36
        .size:           2
        .value_kind:     hidden_remainder_y
      - .offset:         38
        .size:           2
        .value_kind:     hidden_remainder_z
      - .offset:         56
        .size:           8
        .value_kind:     hidden_global_offset_x
      - .offset:         64
        .size:           8
        .value_kind:     hidden_global_offset_y
      - .offset:         72
        .size:           8
        .value_kind:     hidden_global_offset_z
      - .offset:         80
        .size:           2
        .value_kind:     hidden_grid_dims
    .group_segment_fixed_size: 23680
    .kernarg_segment_align: 8
    .kernarg_segment_size: 272
    .language:       OpenCL C
    .language_version:
      - 2
      - 0
    .max_flat_workgroup_size: 320
    .name:           _Z6kernelI9histogramILN6hipcub23BlockHistogramAlgorithmE1EEyLj320ELj8ELj320ELj100EEvPKT0_PS4_
    .private_segment_fixed_size: 0
    .sgpr_count:     44
    .sgpr_spill_count: 0
    .symbol:         _Z6kernelI9histogramILN6hipcub23BlockHistogramAlgorithmE1EEyLj320ELj8ELj320ELj100EEvPKT0_PS4_.kd
    .uniform_work_group_size: 1
    .uses_dynamic_stack: false
    .vgpr_count:     80
    .vgpr_spill_count: 0
    .wavefront_size: 64
  - .args:
      - .address_space:  global
        .offset:         0
        .size:           8
        .value_kind:     global_buffer
      - .address_space:  global
        .offset:         8
        .size:           8
        .value_kind:     global_buffer
      - .offset:         16
        .size:           4
        .value_kind:     hidden_block_count_x
      - .offset:         20
        .size:           4
        .value_kind:     hidden_block_count_y
      - .offset:         24
        .size:           4
        .value_kind:     hidden_block_count_z
      - .offset:         28
        .size:           2
        .value_kind:     hidden_group_size_x
      - .offset:         30
        .size:           2
        .value_kind:     hidden_group_size_y
      - .offset:         32
        .size:           2
        .value_kind:     hidden_group_size_z
      - .offset:         34
        .size:           2
        .value_kind:     hidden_remainder_x
      - .offset:         36
        .size:           2
        .value_kind:     hidden_remainder_y
      - .offset:         38
        .size:           2
        .value_kind:     hidden_remainder_z
      - .offset:         56
        .size:           8
        .value_kind:     hidden_global_offset_x
      - .offset:         64
        .size:           8
        .value_kind:     hidden_global_offset_y
      - .offset:         72
        .size:           8
        .value_kind:     hidden_global_offset_z
      - .offset:         80
        .size:           2
        .value_kind:     hidden_grid_dims
    .group_segment_fixed_size: 44800
    .kernarg_segment_align: 8
    .kernarg_segment_size: 272
    .language:       OpenCL C
    .language_version:
      - 2
      - 0
    .max_flat_workgroup_size: 320
    .name:           _Z6kernelI9histogramILN6hipcub23BlockHistogramAlgorithmE1EEyLj320ELj16ELj320ELj100EEvPKT0_PS4_
    .private_segment_fixed_size: 12
    .sgpr_count:     48
    .sgpr_spill_count: 0
    .symbol:         _Z6kernelI9histogramILN6hipcub23BlockHistogramAlgorithmE1EEyLj320ELj16ELj320ELj100EEvPKT0_PS4_.kd
    .uniform_work_group_size: 1
    .uses_dynamic_stack: false
    .vgpr_count:     128
    .vgpr_spill_count: 2
    .wavefront_size: 64
amdhsa.target:   amdgcn-amd-amdhsa--gfx906
amdhsa.version:
  - 1
  - 2
...

	.end_amdgpu_metadata
